;; amdgpu-corpus repo=ROCm/rocFFT kind=compiled arch=gfx906 opt=O3
	.text
	.amdgcn_target "amdgcn-amd-amdhsa--gfx906"
	.amdhsa_code_object_version 6
	.protected	fft_rtc_back_len128_factors_2_4_4_4_wgs_128_tpt_4_dim2_sp_ip_CI_sbcc_twdbase8_2step_dirReg ; -- Begin function fft_rtc_back_len128_factors_2_4_4_4_wgs_128_tpt_4_dim2_sp_ip_CI_sbcc_twdbase8_2step_dirReg
	.globl	fft_rtc_back_len128_factors_2_4_4_4_wgs_128_tpt_4_dim2_sp_ip_CI_sbcc_twdbase8_2step_dirReg
	.p2align	8
	.type	fft_rtc_back_len128_factors_2_4_4_4_wgs_128_tpt_4_dim2_sp_ip_CI_sbcc_twdbase8_2step_dirReg,@function
fft_rtc_back_len128_factors_2_4_4_4_wgs_128_tpt_4_dim2_sp_ip_CI_sbcc_twdbase8_2step_dirReg: ; @fft_rtc_back_len128_factors_2_4_4_4_wgs_128_tpt_4_dim2_sp_ip_CI_sbcc_twdbase8_2step_dirReg
; %bb.0:
	s_load_dwordx4 s[0:3], s[4:5], 0x10
	s_mov_b32 s7, 0
	s_mov_b64 s[20:21], -1
	s_mov_b64 s[22:23], 0
	s_waitcnt lgkmcnt(0)
	s_load_dwordx2 s[18:19], s[0:1], 0x8
	s_load_dwordx2 s[14:15], s[4:5], 0x50
	;; [unrolled: 1-line block ×3, first 2 shown]
	s_waitcnt lgkmcnt(0)
	s_add_u32 s0, s18, -1
	s_addc_u32 s1, s19, -1
	s_lshr_b64 s[0:1], s[0:1], 5
	s_add_u32 s0, s0, 1
	s_addc_u32 s1, s1, 0
	v_mov_b32_e32 v2, s1
	v_mov_b32_e32 v1, s0
	v_cmp_lt_u64_e32 vcc, s[6:7], v[1:2]
	s_cbranch_vccnz .LBB0_2
; %bb.1:
	v_cvt_f32_u32_e32 v1, s0
	s_sub_i32 s7, 0, s0
	v_rcp_iflag_f32_e32 v1, v1
	v_mul_f32_e32 v1, 0x4f7ffffe, v1
	v_cvt_u32_f32_e32 v1, v1
	v_readfirstlane_b32 s8, v1
	s_mul_i32 s7, s7, s8
	s_mul_hi_u32 s7, s8, s7
	s_add_i32 s8, s8, s7
	s_mul_hi_u32 s7, s6, s8
	s_mul_i32 s9, s7, s0
	s_sub_i32 s9, s6, s9
	s_add_i32 s8, s7, 1
	s_sub_i32 s10, s9, s0
	s_cmp_ge_u32 s9, s0
	s_cselect_b32 s7, s8, s7
	s_cselect_b32 s9, s10, s9
	s_add_i32 s8, s7, 1
	s_cmp_ge_u32 s9, s0
	s_cselect_b32 s22, s8, s7
.LBB0_2:
	s_mul_i32 s1, s22, s1
	s_mul_hi_u32 s7, s22, s0
	s_load_dwordx4 s[8:11], s[2:3], 0x8
	s_add_i32 s7, s7, s1
	s_mul_i32 s0, s22, s0
	s_sub_u32 s0, s6, s0
	s_subb_u32 s1, 0, s7
	v_mov_b32_e32 v1, s0
	s_lshl_b64 s[6:7], s[0:1], 5
	v_alignbit_b32 v1, s1, v1, 27
	v_readfirstlane_b32 s0, v1
	s_waitcnt lgkmcnt(0)
	s_mul_i32 s1, s6, s9
	s_mul_hi_u32 s2, s6, s8
	s_mul_i32 s0, s0, s8
	s_add_i32 s1, s2, s1
	s_mul_i32 s2, s11, s22
	s_mul_hi_u32 s3, s10, s22
	s_add_i32 s1, s1, s0
	s_mul_i32 s0, s6, s8
	s_add_i32 s3, s3, s2
	s_mul_i32 s2, s10, s22
	s_add_u32 s2, s2, s0
	s_addc_u32 s3, s3, s1
	v_and_b32_e32 v75, 31, v0
	s_load_dwordx2 s[16:17], s[4:5], 0x0
	v_or_b32_e32 v1, s6, v75
	s_add_u32 s6, s6, 32
	v_mov_b32_e32 v3, s18
	v_mov_b32_e32 v2, s7
	s_addc_u32 s7, s7, 0
	v_mov_b32_e32 v4, s19
	v_cmp_gt_u64_e32 vcc, s[6:7], v[3:4]
	v_cmp_le_u64_e64 s[0:1], s[6:7], v[3:4]
	v_lshrrev_b32_e32 v76, 5, v0
	s_cbranch_vccz .LBB0_8
; %bb.3:
	v_cmp_le_u64_e32 vcc, s[18:19], v[1:2]
                                        ; implicit-def: $vgpr77
                                        ; implicit-def: $vgpr79
                                        ; implicit-def: $vgpr80
                                        ; implicit-def: $vgpr81
                                        ; implicit-def: $vgpr82
                                        ; implicit-def: $vgpr83
                                        ; implicit-def: $vgpr84
                                        ; implicit-def: $vgpr78
                                        ; implicit-def: $vgpr3_vgpr4
                                        ; implicit-def: $vgpr5_vgpr6
	s_and_saveexec_b64 s[6:7], vcc
	s_xor_b64 s[6:7], exec, s[6:7]
                                        ; implicit-def: $vgpr7_vgpr8
                                        ; implicit-def: $vgpr9_vgpr10
	s_cbranch_execz .LBB0_5
; %bb.4:
	v_mov_b32_e32 v10, 0
	v_or_b32_e32 v77, 4, v76
	v_or_b32_e32 v79, 8, v76
	;; [unrolled: 1-line block ×8, first 2 shown]
	v_mov_b32_e32 v8, v10
	v_or_b32_e32 v3, 64, v76
	v_mov_b32_e32 v4, v10
	v_or_b32_e32 v5, 0x60, v76
	v_mov_b32_e32 v6, v10
.LBB0_5:
	s_or_saveexec_b64 s[6:7], s[6:7]
                                        ; implicit-def: $vgpr15
                                        ; implicit-def: $vgpr11
                                        ; implicit-def: $vgpr13
                                        ; implicit-def: $vgpr17
                                        ; implicit-def: $vgpr19
                                        ; implicit-def: $vgpr21
                                        ; implicit-def: $vgpr23
                                        ; implicit-def: $vgpr29
                                        ; implicit-def: $vgpr27
                                        ; implicit-def: $vgpr25
                                        ; implicit-def: $vgpr41
                                        ; implicit-def: $vgpr47
                                        ; implicit-def: $vgpr57
                                        ; implicit-def: $vgpr51
                                        ; implicit-def: $vgpr55
                                        ; implicit-def: $vgpr63
                                        ; implicit-def: $vgpr59
                                        ; implicit-def: $vgpr61
                                        ; implicit-def: $vgpr69
                                        ; implicit-def: $vgpr67
                                        ; implicit-def: $vgpr31
                                        ; implicit-def: $vgpr37
                                        ; implicit-def: $vgpr33
                                        ; implicit-def: $vgpr35
                                        ; implicit-def: $vgpr45
                                        ; implicit-def: $vgpr39
                                        ; implicit-def: $vgpr43
                                        ; implicit-def: $vgpr53
                                        ; implicit-def: $vgpr49
                                        ; implicit-def: $vgpr65
                                        ; implicit-def: $vgpr73
                                        ; implicit-def: $vgpr71
	s_xor_b64 exec, exec, s[6:7]
	s_cbranch_execz .LBB0_7
; %bb.6:
	v_mad_u64_u32 v[3:4], s[10:11], s8, v75, 0
	v_mad_u64_u32 v[5:6], s[10:11], s12, v76, 0
	v_or_b32_e32 v77, 4, v76
	v_or_b32_e32 v17, 0x44, v76
	v_mad_u64_u32 v[7:8], s[10:11], s9, v75, v[4:5]
	v_mov_b32_e32 v4, v6
	v_mad_u64_u32 v[8:9], s[10:11], s13, v76, v[4:5]
	s_lshl_b64 s[10:11], s[2:3], 3
	v_mov_b32_e32 v4, v7
	s_add_u32 s20, s14, s10
	v_mov_b32_e32 v6, v8
	s_addc_u32 s10, s15, s11
	v_lshlrev_b64 v[7:8], 3, v[3:4]
	v_or_b32_e32 v3, 64, v76
	v_mov_b32_e32 v9, s10
	v_mad_u64_u32 v[11:12], s[10:11], s12, v3, 0
	v_add_co_u32_e32 v4, vcc, s20, v7
	v_lshlrev_b64 v[6:7], 3, v[5:6]
	v_mov_b32_e32 v5, v12
	v_addc_co_u32_e32 v10, vcc, v9, v8, vcc
	v_mad_u64_u32 v[8:9], s[10:11], s13, v3, v[5:6]
	v_mad_u64_u32 v[13:14], s[10:11], s12, v77, 0
	v_add_co_u32_e32 v6, vcc, v4, v6
	v_mov_b32_e32 v12, v8
	v_mov_b32_e32 v5, v14
	v_lshlrev_b64 v[8:9], 3, v[11:12]
	v_mad_u64_u32 v[11:12], s[10:11], s13, v77, v[5:6]
	v_mad_u64_u32 v[15:16], s[10:11], s12, v17, 0
	v_mov_b32_e32 v14, v11
	v_or_b32_e32 v79, 8, v76
	v_mov_b32_e32 v5, v16
	v_lshlrev_b64 v[11:12], 3, v[13:14]
	v_mad_u64_u32 v[13:14], s[10:11], s13, v17, v[5:6]
	v_mad_u64_u32 v[19:20], s[10:11], s12, v79, 0
	v_addc_co_u32_e32 v7, vcc, v10, v7, vcc
	v_add_co_u32_e32 v8, vcc, v4, v8
	v_addc_co_u32_e32 v9, vcc, v10, v9, vcc
	v_add_co_u32_e32 v17, vcc, v4, v11
	v_mov_b32_e32 v16, v13
	v_mov_b32_e32 v5, v20
	v_addc_co_u32_e32 v18, vcc, v10, v12, vcc
	v_lshlrev_b64 v[11:12], 3, v[15:16]
	v_mad_u64_u32 v[13:14], s[10:11], s13, v79, v[5:6]
	v_or_b32_e32 v16, 0x48, v76
	v_mad_u64_u32 v[14:15], s[10:11], s12, v16, 0
	v_add_co_u32_e32 v21, vcc, v4, v11
	v_mov_b32_e32 v20, v13
	v_or_b32_e32 v80, 12, v76
	v_addc_co_u32_e32 v22, vcc, v10, v12, vcc
	v_lshlrev_b64 v[11:12], 3, v[19:20]
	v_mov_b32_e32 v5, v15
	v_mad_u64_u32 v[19:20], s[10:11], s12, v80, 0
	v_mad_u64_u32 v[15:16], s[10:11], s13, v16, v[5:6]
	v_add_co_u32_e32 v23, vcc, v4, v11
	v_mov_b32_e32 v5, v20
	v_addc_co_u32_e32 v24, vcc, v10, v12, vcc
	v_lshlrev_b64 v[11:12], 3, v[14:15]
	v_mad_u64_u32 v[13:14], s[10:11], s13, v80, v[5:6]
	v_or_b32_e32 v16, 0x4c, v76
	v_mad_u64_u32 v[14:15], s[10:11], s12, v16, 0
	v_add_co_u32_e32 v25, vcc, v4, v11
	v_mov_b32_e32 v20, v13
	v_or_b32_e32 v81, 16, v76
	v_addc_co_u32_e32 v26, vcc, v10, v12, vcc
	v_lshlrev_b64 v[11:12], 3, v[19:20]
	v_mov_b32_e32 v5, v15
	v_mad_u64_u32 v[19:20], s[10:11], s12, v81, 0
	v_mad_u64_u32 v[15:16], s[10:11], s13, v16, v[5:6]
	v_add_co_u32_e32 v27, vcc, v4, v11
	;; [unrolled: 15-line block ×6, first 2 shown]
	v_mov_b32_e32 v5, v20
	v_addc_co_u32_e32 v62, vcc, v10, v12, vcc
	v_lshlrev_b64 v[11:12], 3, v[14:15]
	v_mad_u64_u32 v[13:14], s[10:11], s13, v78, v[5:6]
	v_or_b32_e32 v5, 0x60, v76
	v_mad_u64_u32 v[14:15], s[10:11], s12, v5, 0
	v_mov_b32_e32 v20, v13
	v_add_co_u32_e32 v85, vcc, v4, v11
	v_mov_b32_e32 v13, v15
	v_mad_u64_u32 v[15:16], s[10:11], s13, v5, v[13:14]
	v_or_b32_e32 v16, 36, v76
	v_addc_co_u32_e32 v86, vcc, v10, v12, vcc
	v_lshlrev_b64 v[11:12], 3, v[19:20]
	v_mad_u64_u32 v[19:20], s[10:11], s12, v16, 0
	v_add_co_u32_e32 v87, vcc, v4, v11
	v_mov_b32_e32 v13, v20
	v_addc_co_u32_e32 v88, vcc, v10, v12, vcc
	v_lshlrev_b64 v[11:12], 3, v[14:15]
	v_mad_u64_u32 v[13:14], s[10:11], s13, v16, v[13:14]
	v_or_b32_e32 v16, 0x64, v76
	v_mad_u64_u32 v[14:15], s[10:11], s12, v16, 0
	v_mov_b32_e32 v20, v13
	v_add_co_u32_e32 v89, vcc, v4, v11
	v_mov_b32_e32 v13, v15
	v_mad_u64_u32 v[15:16], s[10:11], s13, v16, v[13:14]
	v_or_b32_e32 v16, 40, v76
	v_addc_co_u32_e32 v90, vcc, v10, v12, vcc
	v_lshlrev_b64 v[11:12], 3, v[19:20]
	v_mad_u64_u32 v[19:20], s[10:11], s12, v16, 0
	v_add_co_u32_e32 v91, vcc, v4, v11
	;; [unrolled: 15-line block ×7, first 2 shown]
	v_mov_b32_e32 v13, v20
	v_addc_co_u32_e32 v112, vcc, v10, v12, vcc
	v_lshlrev_b64 v[11:12], 3, v[14:15]
	v_mad_u64_u32 v[13:14], s[10:11], s13, v16, v[13:14]
	v_or_b32_e32 v16, 0x7c, v76
	v_mad_u64_u32 v[14:15], s[10:11], s12, v16, 0
	v_mov_b32_e32 v20, v13
	v_add_co_u32_e32 v113, vcc, v4, v11
	v_mov_b32_e32 v13, v15
	v_mad_u64_u32 v[15:16], s[10:11], s13, v16, v[13:14]
	v_addc_co_u32_e32 v114, vcc, v10, v12, vcc
	v_lshlrev_b64 v[11:12], 3, v[19:20]
	v_add_co_u32_e32 v115, vcc, v4, v11
	v_addc_co_u32_e32 v116, vcc, v10, v12, vcc
	v_lshlrev_b64 v[11:12], 3, v[14:15]
	v_add_co_u32_e32 v117, vcc, v4, v11
	v_addc_co_u32_e32 v118, vcc, v10, v12, vcc
	global_load_dwordx2 v[71:72], v[6:7], off
	global_load_dwordx2 v[73:74], v[8:9], off
	global_load_dwordx2 v[65:66], v[17:18], off
	global_load_dwordx2 v[15:16], v[21:22], off
	global_load_dwordx2 v[49:50], v[23:24], off
	global_load_dwordx2 v[53:54], v[25:26], off
	global_load_dwordx2 v[43:44], v[27:28], off
	global_load_dwordx2 v[11:12], v[29:30], off
	global_load_dwordx2 v[39:40], v[41:42], off
	global_load_dwordx2 v[45:46], v[47:48], off
	global_load_dwordx2 v[35:36], v[51:52], off
	global_load_dwordx2 v[13:14], v[55:56], off
	global_load_dwordx2 v[33:34], v[57:58], off
	global_load_dwordx2 v[37:38], v[59:60], off
	global_load_dwordx2 v[31:32], v[61:62], off
                                        ; kill: killed $vgpr27 killed $vgpr28
                                        ; kill: killed $vgpr61 killed $vgpr62
                                        ; kill: killed $vgpr21 killed $vgpr22
                                        ; kill: killed $vgpr55 killed $vgpr56
                                        ; kill: killed $vgpr23 killed $vgpr24
                                        ; kill: killed $vgpr57 killed $vgpr58
                                        ; kill: killed $vgpr6 killed $vgpr7
                                        ; kill: killed $vgpr8 killed $vgpr9
                                        ; kill: killed $vgpr47 killed $vgpr48
                                        ; kill: killed $vgpr17 killed $vgpr18
                                        ; kill: killed $vgpr51 killed $vgpr52
                                        ; kill: killed $vgpr29 killed $vgpr30
                                        ; kill: killed $vgpr41 killed $vgpr42
                                        ; kill: killed $vgpr25 killed $vgpr26
                                        ; kill: killed $vgpr59 killed $vgpr60
	global_load_dwordx2 v[17:18], v[85:86], off
	global_load_dwordx2 v[67:68], v[87:88], off
	;; [unrolled: 1-line block ×3, first 2 shown]
	s_nop 0
	global_load_dwordx2 v[61:62], v[91:92], off
	global_load_dwordx2 v[19:20], v[93:94], off
	;; [unrolled: 1-line block ×12, first 2 shown]
                                        ; kill: killed $vgpr105 killed $vgpr106
                                        ; kill: killed $vgpr95 killed $vgpr96
                                        ; kill: killed $vgpr109 killed $vgpr110
                                        ; kill: killed $vgpr99 killed $vgpr100
                                        ; kill: killed $vgpr87 killed $vgpr88
                                        ; kill: killed $vgpr89 killed $vgpr90
                                        ; kill: killed $vgpr113 killed $vgpr114
                                        ; kill: killed $vgpr103 killed $vgpr104
                                        ; kill: killed $vgpr93 killed $vgpr94
                                        ; kill: killed $vgpr107 killed $vgpr108
                                        ; kill: killed $vgpr97 killed $vgpr98
                                        ; kill: killed $vgpr85 killed $vgpr86
                                        ; kill: killed $vgpr111 killed $vgpr112
                                        ; kill: killed $vgpr101 killed $vgpr102
                                        ; kill: killed $vgpr91 killed $vgpr92
	global_load_dwordx2 v[27:28], v[115:116], off
	global_load_dwordx2 v[29:30], v[117:118], off
	v_mov_b32_e32 v10, 0
	v_mov_b32_e32 v4, v10
	;; [unrolled: 1-line block ×4, first 2 shown]
.LBB0_7:
	s_or_b64 exec, exec, s[6:7]
	s_cbranch_execz .LBB0_9
	s_branch .LBB0_10
.LBB0_8:
                                        ; implicit-def: $vgpr15
                                        ; implicit-def: $vgpr11
                                        ; implicit-def: $vgpr13
                                        ; implicit-def: $vgpr17
                                        ; implicit-def: $vgpr19
                                        ; implicit-def: $vgpr21
                                        ; implicit-def: $vgpr23
                                        ; implicit-def: $vgpr29
                                        ; implicit-def: $vgpr27
                                        ; implicit-def: $vgpr25
                                        ; implicit-def: $vgpr77
                                        ; implicit-def: $vgpr79
                                        ; implicit-def: $vgpr80
                                        ; implicit-def: $vgpr81
                                        ; implicit-def: $vgpr82
                                        ; implicit-def: $vgpr83
                                        ; implicit-def: $vgpr84
                                        ; implicit-def: $vgpr78
                                        ; implicit-def: $vgpr41
                                        ; implicit-def: $vgpr47
                                        ; implicit-def: $vgpr57
                                        ; implicit-def: $vgpr51
                                        ; implicit-def: $vgpr55
                                        ; implicit-def: $vgpr63
                                        ; implicit-def: $vgpr59
                                        ; implicit-def: $vgpr61
                                        ; implicit-def: $vgpr69
                                        ; implicit-def: $vgpr67
                                        ; implicit-def: $vgpr31
                                        ; implicit-def: $vgpr37
                                        ; implicit-def: $vgpr33
                                        ; implicit-def: $vgpr35
                                        ; implicit-def: $vgpr45
                                        ; implicit-def: $vgpr39
                                        ; implicit-def: $vgpr43
                                        ; implicit-def: $vgpr53
                                        ; implicit-def: $vgpr49
                                        ; implicit-def: $vgpr65
                                        ; implicit-def: $vgpr73
                                        ; implicit-def: $vgpr71
                                        ; implicit-def: $vgpr3_vgpr4
                                        ; implicit-def: $vgpr5_vgpr6
                                        ; implicit-def: $vgpr7_vgpr8
                                        ; implicit-def: $vgpr9_vgpr10
	s_andn2_b64 vcc, exec, s[20:21]
	s_cbranch_vccnz .LBB0_10
.LBB0_9:
	v_mad_u64_u32 v[3:4], s[6:7], s8, v75, 0
	v_mad_u64_u32 v[5:6], s[6:7], s12, v76, 0
	v_or_b32_e32 v77, 4, v76
	s_waitcnt vmcnt(16)
	v_or_b32_e32 v17, 0x44, v76
	v_mad_u64_u32 v[7:8], s[6:7], s9, v75, v[4:5]
	v_mov_b32_e32 v4, v6
	v_mad_u64_u32 v[8:9], s[6:7], s13, v76, v[4:5]
	s_lshl_b64 s[6:7], s[2:3], 3
	v_mov_b32_e32 v4, v7
	s_add_u32 s10, s14, s6
	v_mov_b32_e32 v6, v8
	s_addc_u32 s6, s15, s7
	v_lshlrev_b64 v[7:8], 3, v[3:4]
	v_or_b32_e32 v3, 64, v76
	v_mov_b32_e32 v9, s6
	v_mad_u64_u32 v[11:12], s[6:7], s12, v3, 0
	v_add_co_u32_e32 v4, vcc, s10, v7
	v_lshlrev_b64 v[6:7], 3, v[5:6]
	v_mov_b32_e32 v5, v12
	v_addc_co_u32_e32 v10, vcc, v9, v8, vcc
	v_mad_u64_u32 v[8:9], s[6:7], s13, v3, v[5:6]
	v_mad_u64_u32 v[13:14], s[6:7], s12, v77, 0
	v_add_co_u32_e32 v6, vcc, v4, v6
	v_mov_b32_e32 v12, v8
	v_mov_b32_e32 v5, v14
	v_lshlrev_b64 v[8:9], 3, v[11:12]
	v_mad_u64_u32 v[11:12], s[6:7], s13, v77, v[5:6]
	v_mad_u64_u32 v[15:16], s[6:7], s12, v17, 0
	v_mov_b32_e32 v14, v11
	v_or_b32_e32 v79, 8, v76
	v_mov_b32_e32 v5, v16
	v_lshlrev_b64 v[11:12], 3, v[13:14]
	v_mad_u64_u32 v[13:14], s[6:7], s13, v17, v[5:6]
	s_waitcnt vmcnt(8)
	v_mad_u64_u32 v[21:22], s[6:7], s12, v79, 0
	v_addc_co_u32_e32 v7, vcc, v10, v7, vcc
	v_add_co_u32_e32 v8, vcc, v4, v8
	v_addc_co_u32_e32 v9, vcc, v10, v9, vcc
	v_add_co_u32_e32 v17, vcc, v4, v11
	v_mov_b32_e32 v16, v13
	v_mov_b32_e32 v5, v22
	v_addc_co_u32_e32 v18, vcc, v10, v12, vcc
	v_lshlrev_b64 v[11:12], 3, v[15:16]
	v_mad_u64_u32 v[13:14], s[6:7], s13, v79, v[5:6]
	v_or_b32_e32 v16, 0x48, v76
	v_mad_u64_u32 v[14:15], s[6:7], s12, v16, 0
	v_add_co_u32_e32 v19, vcc, v4, v11
	v_mov_b32_e32 v22, v13
	v_or_b32_e32 v80, 12, v76
	v_addc_co_u32_e32 v20, vcc, v10, v12, vcc
	v_lshlrev_b64 v[11:12], 3, v[21:22]
	v_mov_b32_e32 v5, v15
	v_mad_u64_u32 v[21:22], s[6:7], s12, v80, 0
	v_mad_u64_u32 v[15:16], s[6:7], s13, v16, v[5:6]
	s_waitcnt vmcnt(4)
	v_add_co_u32_e32 v23, vcc, v4, v11
	v_mov_b32_e32 v5, v22
	v_addc_co_u32_e32 v24, vcc, v10, v12, vcc
	v_lshlrev_b64 v[11:12], 3, v[14:15]
	v_mad_u64_u32 v[13:14], s[6:7], s13, v80, v[5:6]
	v_or_b32_e32 v16, 0x4c, v76
	v_mad_u64_u32 v[14:15], s[6:7], s12, v16, 0
	s_waitcnt vmcnt(2)
	v_add_co_u32_e32 v25, vcc, v4, v11
	v_mov_b32_e32 v22, v13
	v_or_b32_e32 v81, 16, v76
	v_addc_co_u32_e32 v26, vcc, v10, v12, vcc
	v_lshlrev_b64 v[11:12], 3, v[21:22]
	v_mov_b32_e32 v5, v15
	v_mad_u64_u32 v[21:22], s[6:7], s12, v81, 0
	v_mad_u64_u32 v[15:16], s[6:7], s13, v16, v[5:6]
	s_waitcnt vmcnt(1)
	v_add_co_u32_e32 v27, vcc, v4, v11
	v_mov_b32_e32 v5, v22
	v_addc_co_u32_e32 v28, vcc, v10, v12, vcc
	v_lshlrev_b64 v[11:12], 3, v[14:15]
	v_mad_u64_u32 v[13:14], s[6:7], s13, v81, v[5:6]
	v_or_b32_e32 v16, 0x50, v76
	v_mad_u64_u32 v[14:15], s[6:7], s12, v16, 0
	s_waitcnt vmcnt(0)
	v_add_co_u32_e32 v29, vcc, v4, v11
	v_mov_b32_e32 v22, v13
	v_or_b32_e32 v82, 20, v76
	v_addc_co_u32_e32 v30, vcc, v10, v12, vcc
	v_lshlrev_b64 v[11:12], 3, v[21:22]
	v_mov_b32_e32 v5, v15
	v_mad_u64_u32 v[21:22], s[6:7], s12, v82, 0
	v_mad_u64_u32 v[15:16], s[6:7], s13, v16, v[5:6]
	v_add_co_u32_e32 v41, vcc, v4, v11
	v_mov_b32_e32 v5, v22
	v_addc_co_u32_e32 v42, vcc, v10, v12, vcc
	v_lshlrev_b64 v[11:12], 3, v[14:15]
	v_mad_u64_u32 v[13:14], s[6:7], s13, v82, v[5:6]
	v_or_b32_e32 v16, 0x54, v76
	v_mad_u64_u32 v[14:15], s[6:7], s12, v16, 0
	v_add_co_u32_e32 v47, vcc, v4, v11
	v_mov_b32_e32 v22, v13
	v_or_b32_e32 v83, 24, v76
	v_addc_co_u32_e32 v48, vcc, v10, v12, vcc
	v_lshlrev_b64 v[11:12], 3, v[21:22]
	v_mov_b32_e32 v5, v15
	v_mad_u64_u32 v[21:22], s[6:7], s12, v83, 0
	v_mad_u64_u32 v[15:16], s[6:7], s13, v16, v[5:6]
	v_add_co_u32_e32 v51, vcc, v4, v11
	v_mov_b32_e32 v5, v22
	v_addc_co_u32_e32 v52, vcc, v10, v12, vcc
	v_lshlrev_b64 v[11:12], 3, v[14:15]
	v_mad_u64_u32 v[13:14], s[6:7], s13, v83, v[5:6]
	v_or_b32_e32 v16, 0x58, v76
	v_mad_u64_u32 v[14:15], s[6:7], s12, v16, 0
	;; [unrolled: 15-line block ×4, first 2 shown]
	v_mov_b32_e32 v22, v13
	v_add_co_u32_e32 v85, vcc, v4, v11
	v_mov_b32_e32 v13, v15
	v_mad_u64_u32 v[15:16], s[6:7], s13, v5, v[13:14]
	v_or_b32_e32 v16, 36, v76
	v_addc_co_u32_e32 v86, vcc, v10, v12, vcc
	v_lshlrev_b64 v[11:12], 3, v[21:22]
	v_mad_u64_u32 v[21:22], s[6:7], s12, v16, 0
	v_add_co_u32_e32 v87, vcc, v4, v11
	v_mov_b32_e32 v13, v22
	v_addc_co_u32_e32 v88, vcc, v10, v12, vcc
	v_lshlrev_b64 v[11:12], 3, v[14:15]
	v_mad_u64_u32 v[13:14], s[6:7], s13, v16, v[13:14]
	v_or_b32_e32 v16, 0x64, v76
	v_mad_u64_u32 v[14:15], s[6:7], s12, v16, 0
	v_mov_b32_e32 v22, v13
	v_add_co_u32_e32 v89, vcc, v4, v11
	v_mov_b32_e32 v13, v15
	v_mad_u64_u32 v[15:16], s[6:7], s13, v16, v[13:14]
	v_or_b32_e32 v16, 40, v76
	v_addc_co_u32_e32 v90, vcc, v10, v12, vcc
	v_lshlrev_b64 v[11:12], 3, v[21:22]
	v_mad_u64_u32 v[21:22], s[6:7], s12, v16, 0
	v_add_co_u32_e32 v91, vcc, v4, v11
	v_mov_b32_e32 v13, v22
	v_addc_co_u32_e32 v92, vcc, v10, v12, vcc
	v_lshlrev_b64 v[11:12], 3, v[14:15]
	v_mad_u64_u32 v[13:14], s[6:7], s13, v16, v[13:14]
	v_or_b32_e32 v16, 0x68, v76
	v_mad_u64_u32 v[14:15], s[6:7], s12, v16, 0
	;; [unrolled: 15-line block ×7, first 2 shown]
	v_mov_b32_e32 v22, v13
	v_add_co_u32_e32 v113, vcc, v4, v11
	v_mov_b32_e32 v13, v15
	v_mad_u64_u32 v[15:16], s[6:7], s13, v16, v[13:14]
	v_addc_co_u32_e32 v114, vcc, v10, v12, vcc
	v_lshlrev_b64 v[11:12], 3, v[21:22]
	v_add_co_u32_e32 v115, vcc, v4, v11
	v_addc_co_u32_e32 v116, vcc, v10, v12, vcc
	v_lshlrev_b64 v[11:12], 3, v[14:15]
	v_add_co_u32_e32 v117, vcc, v4, v11
	v_addc_co_u32_e32 v118, vcc, v10, v12, vcc
	global_load_dwordx2 v[71:72], v[6:7], off
	global_load_dwordx2 v[73:74], v[8:9], off
	;; [unrolled: 1-line block ×15, first 2 shown]
                                        ; kill: killed $vgpr41 killed $vgpr42
                                        ; kill: killed $vgpr25 killed $vgpr26
                                        ; kill: killed $vgpr59 killed $vgpr60
                                        ; kill: killed $vgpr27 killed $vgpr28
                                        ; kill: killed $vgpr61 killed $vgpr62
                                        ; kill: killed $vgpr19 killed $vgpr20
                                        ; kill: killed $vgpr55 killed $vgpr56
                                        ; kill: killed $vgpr23 killed $vgpr24
                                        ; kill: killed $vgpr57 killed $vgpr58
                                        ; kill: killed $vgpr6 killed $vgpr7
                                        ; kill: killed $vgpr8 killed $vgpr9
                                        ; kill: killed $vgpr47 killed $vgpr48
                                        ; kill: killed $vgpr17 killed $vgpr18
                                        ; kill: killed $vgpr51 killed $vgpr52
                                        ; kill: killed $vgpr29 killed $vgpr30
	global_load_dwordx2 v[17:18], v[85:86], off
	global_load_dwordx2 v[67:68], v[87:88], off
	;; [unrolled: 1-line block ×3, first 2 shown]
	s_nop 0
	global_load_dwordx2 v[61:62], v[91:92], off
	global_load_dwordx2 v[19:20], v[93:94], off
	;; [unrolled: 1-line block ×12, first 2 shown]
                                        ; kill: killed $vgpr97 killed $vgpr98
                                        ; kill: killed $vgpr85 killed $vgpr86
                                        ; kill: killed $vgpr111 killed $vgpr112
                                        ; kill: killed $vgpr101 killed $vgpr102
                                        ; kill: killed $vgpr91 killed $vgpr92
                                        ; kill: killed $vgpr105 killed $vgpr106
                                        ; kill: killed $vgpr95 killed $vgpr96
                                        ; kill: killed $vgpr109 killed $vgpr110
                                        ; kill: killed $vgpr99 killed $vgpr100
                                        ; kill: killed $vgpr87 killed $vgpr88
                                        ; kill: killed $vgpr89 killed $vgpr90
                                        ; kill: killed $vgpr113 killed $vgpr114
                                        ; kill: killed $vgpr103 killed $vgpr104
                                        ; kill: killed $vgpr93 killed $vgpr94
                                        ; kill: killed $vgpr107 killed $vgpr108
	global_load_dwordx2 v[27:28], v[115:116], off
	global_load_dwordx2 v[29:30], v[117:118], off
	v_mov_b32_e32 v10, 0
	v_mov_b32_e32 v4, v10
	;; [unrolled: 1-line block ×4, first 2 shown]
.LBB0_10:
	s_waitcnt vmcnt(30)
	v_sub_f32_e32 v73, v71, v73
	v_sub_f32_e32 v74, v72, v74
	v_fma_f32 v85, v71, 2.0, -v73
	v_lshlrev_b32_e32 v7, 9, v76
	v_lshlrev_b32_e32 v71, 3, v75
	s_waitcnt vmcnt(28)
	v_sub_f32_e32 v15, v65, v15
	v_sub_f32_e32 v16, v66, v16
	v_lshlrev_b32_e32 v9, 9, v77
	v_fma_f32 v86, v72, 2.0, -v74
	v_add3_u32 v7, 0, v7, v71
	v_fma_f32 v65, v65, 2.0, -v15
	v_fma_f32 v66, v66, 2.0, -v16
	v_add3_u32 v9, 0, v9, v71
	ds_write2_b64 v7, v[85:86], v[73:74] offset1:32
	ds_write2_b64 v9, v[65:66], v[15:16] offset1:32
	s_waitcnt vmcnt(26)
	v_sub_f32_e32 v15, v49, v53
	v_sub_f32_e32 v16, v50, v54
	v_lshlrev_b32_e32 v9, 9, v79
	v_fma_f32 v49, v49, 2.0, -v15
	v_fma_f32 v50, v50, 2.0, -v16
	v_add3_u32 v9, 0, v9, v71
	s_waitcnt vmcnt(24)
	v_sub_f32_e32 v11, v43, v11
	v_sub_f32_e32 v12, v44, v12
	ds_write2_b64 v9, v[49:50], v[15:16] offset1:32
	v_lshlrev_b32_e32 v9, 9, v80
	v_fma_f32 v43, v43, 2.0, -v11
	v_fma_f32 v44, v44, 2.0, -v12
	v_add3_u32 v9, 0, v9, v71
	s_waitcnt vmcnt(22)
	v_sub_f32_e32 v45, v39, v45
	v_sub_f32_e32 v46, v40, v46
	ds_write2_b64 v9, v[43:44], v[11:12] offset1:32
	;; [unrolled: 8-line block ×6, first 2 shown]
	v_lshlrev_b32_e32 v9, 9, v78
	v_fma_f32 v65, v67, 2.0, -v53
	v_fma_f32 v66, v68, 2.0, -v54
	s_waitcnt vmcnt(12)
	v_sub_f32_e32 v19, v61, v19
	v_sub_f32_e32 v20, v62, v20
	v_add3_u32 v9, 0, v9, v71
	v_fma_f32 v61, v61, 2.0, -v19
	v_fma_f32 v62, v62, 2.0, -v20
	s_waitcnt vmcnt(10)
	v_sub_f32_e32 v63, v59, v63
	v_sub_f32_e32 v64, v60, v64
	ds_write2_b64 v9, v[65:66], v[53:54] offset1:32
	v_add_u32_e32 v9, 0x4800, v7
	v_fma_f32 v59, v59, 2.0, -v63
	v_fma_f32 v60, v60, 2.0, -v64
	s_waitcnt vmcnt(8)
	v_sub_f32_e32 v21, v55, v21
	v_sub_f32_e32 v22, v56, v22
	ds_write2_b64 v9, v[61:62], v[19:20] offset1:32
	v_add_u32_e32 v9, 0x5000, v7
	v_fma_f32 v55, v55, 2.0, -v21
	v_fma_f32 v56, v56, 2.0, -v22
	s_waitcnt vmcnt(6)
	v_sub_f32_e32 v57, v51, v57
	v_sub_f32_e32 v58, v52, v58
	ds_write2_b64 v9, v[59:60], v[63:64] offset1:32
	v_add_u32_e32 v9, 0x5800, v7
	v_fma_f32 v51, v51, 2.0, -v57
	v_fma_f32 v52, v52, 2.0, -v58
	s_waitcnt vmcnt(4)
	v_sub_f32_e32 v23, v47, v23
	v_sub_f32_e32 v24, v48, v24
	ds_write2_b64 v9, v[55:56], v[21:22] offset1:32
	v_add_u32_e32 v9, 0x6000, v7
	v_bfe_u32 v0, v0, 5, 1
	v_fma_f32 v47, v47, 2.0, -v23
	v_fma_f32 v48, v48, 2.0, -v24
	s_waitcnt vmcnt(2)
	v_sub_f32_e32 v25, v41, v25
	v_sub_f32_e32 v26, v42, v26
	s_waitcnt vmcnt(0)
	v_sub_f32_e32 v29, v27, v29
	v_sub_f32_e32 v30, v28, v30
	ds_write2_b64 v9, v[51:52], v[57:58] offset1:32
	v_add_u32_e32 v9, 0x6800, v7
	v_mul_u32_u24_e32 v0, 3, v0
	v_fma_f32 v41, v41, 2.0, -v25
	v_fma_f32 v42, v42, 2.0, -v26
	;; [unrolled: 1-line block ×4, first 2 shown]
	ds_write2_b64 v9, v[47:48], v[23:24] offset1:32
	v_add_u32_e32 v9, 0x7000, v7
	v_add_u32_e32 v7, 0x7800, v7
	v_lshlrev_b32_e32 v0, 3, v0
	ds_write2_b64 v9, v[41:42], v[25:26] offset1:32
	ds_write2_b64 v7, v[27:28], v[29:30] offset1:32
	s_waitcnt lgkmcnt(0)
	s_barrier
	global_load_dwordx4 v[11:14], v0, s[16:17]
	global_load_dwordx2 v[51:52], v0, s[16:17] offset:16
	v_lshlrev_b32_e32 v0, 8, v76
	v_add3_u32 v53, 0, v0, v71
	v_lshlrev_b32_e32 v0, 8, v78
	ds_read2st64_b64 v[15:18], v53 offset1:18
	v_add3_u32 v9, 0, v0, v71
	ds_read2st64_b64 v[19:22], v53 offset0:32 offset1:34
	ds_read2st64_b64 v[23:26], v53 offset0:48 offset1:50
	;; [unrolled: 1-line block ×11, first 2 shown]
	s_movk_i32 s6, 0xe0
	v_cmp_gt_u64_e32 vcc, s[18:19], v[1:2]
	s_or_b64 s[0:1], s[0:1], vcc
	s_waitcnt vmcnt(1) lgkmcnt(10)
	v_mul_f32_e32 v0, v20, v14
	v_fmac_f32_e32 v0, v19, v13
	v_mul_f32_e32 v7, v19, v14
	v_mul_f32_e32 v19, v21, v14
	v_fma_f32 v67, v22, v13, -v19
	s_waitcnt vmcnt(0) lgkmcnt(9)
	v_mul_f32_e32 v19, v23, v52
	v_fma_f32 v69, v24, v51, -v19
	v_mul_f32_e32 v19, v25, v52
	v_mul_f32_e32 v70, v26, v52
	v_fma_f32 v26, v26, v51, -v19
	s_waitcnt lgkmcnt(8)
	v_mul_f32_e32 v19, v27, v12
	v_fma_f32 v73, v28, v11, -v19
	v_mul_f32_e32 v19, v29, v12
	v_fma_f32 v85, v30, v11, -v19
	s_waitcnt lgkmcnt(7)
	v_mul_f32_e32 v19, v31, v14
	v_fma_f32 v87, v32, v13, -v19
	v_mul_f32_e32 v19, v33, v14
	v_fma_f32 v89, v34, v13, -v19
	s_waitcnt lgkmcnt(6)
	v_mul_f32_e32 v19, v35, v52
	v_fma_f32 v91, v36, v51, -v19
	v_mul_f32_e32 v19, v37, v52
	v_mul_f32_e32 v92, v38, v52
	v_fma_f32 v38, v38, v51, -v19
	s_waitcnt lgkmcnt(5)
	v_mul_f32_e32 v19, v39, v12
	v_mul_f32_e32 v93, v40, v12
	v_fma_f32 v40, v40, v11, -v19
	v_mul_f32_e32 v19, v41, v12
	v_mul_f32_e32 v94, v42, v12
	v_fma_f32 v42, v42, v11, -v19
	s_waitcnt lgkmcnt(4)
	v_mul_f32_e32 v19, v43, v14
	v_fma_f32 v95, v44, v13, -v19
	v_mul_f32_e32 v19, v45, v14
	v_fma_f32 v97, v46, v13, -v19
	s_waitcnt lgkmcnt(3)
	v_mul_f32_e32 v19, v47, v52
	v_mul_f32_e32 v96, v46, v14
	v_fma_f32 v46, v48, v51, -v19
	v_mul_f32_e32 v98, v50, v52
	v_mul_f32_e32 v19, v49, v52
	v_fmac_f32_e32 v98, v49, v51
	v_fma_f32 v49, v50, v51, -v19
	s_waitcnt lgkmcnt(2)
	v_mul_f32_e32 v99, v55, v12
	v_mul_f32_e32 v19, v54, v12
	v_fmac_f32_e32 v99, v54, v11
	v_fma_f32 v54, v55, v11, -v19
	v_mul_f32_e32 v55, v57, v12
	v_mul_f32_e32 v19, v56, v12
	;; [unrolled: 1-line block ×5, first 2 shown]
	v_fmac_f32_e32 v94, v41, v11
	v_mul_f32_e32 v41, v44, v14
	v_fmac_f32_e32 v55, v56, v11
	v_fma_f32 v56, v57, v11, -v19
	s_waitcnt lgkmcnt(1)
	v_mul_f32_e32 v100, v59, v14
	v_mul_f32_e32 v19, v58, v14
	;; [unrolled: 1-line block ×4, first 2 shown]
	v_fma_f32 v7, v20, v13, -v7
	v_fmac_f32_e32 v66, v21, v13
	v_fmac_f32_e32 v86, v31, v13
	;; [unrolled: 1-line block ×6, first 2 shown]
	v_fma_f32 v58, v59, v13, -v19
	v_fmac_f32_e32 v101, v60, v13
	v_fma_f32 v102, v61, v13, -v14
	s_waitcnt lgkmcnt(0)
	v_mul_f32_e32 v13, v62, v52
	v_mul_f32_e32 v103, v63, v52
	v_fma_f32 v63, v63, v51, -v13
	v_mul_f32_e32 v13, v64, v52
	v_mul_f32_e32 v68, v24, v52
	;; [unrolled: 1-line block ×5, first 2 shown]
	v_fma_f32 v52, v65, v51, -v13
	v_lshlrev_b32_e32 v13, 8, v77
	v_fmac_f32_e32 v68, v23, v51
	v_fmac_f32_e32 v70, v25, v51
	;; [unrolled: 1-line block ×7, first 2 shown]
	v_add3_u32 v51, 0, v13, v71
	v_lshlrev_b32_e32 v13, 8, v79
	v_add3_u32 v43, 0, v13, v71
	ds_read_b64 v[13:14], v9
	v_mul_f32_e32 v72, v28, v12
	v_mul_f32_e32 v74, v30, v12
	v_fmac_f32_e32 v93, v39, v11
	v_mul_f32_e32 v39, v18, v12
	s_waitcnt lgkmcnt(0)
	v_mul_f32_e32 v28, v14, v12
	v_fmac_f32_e32 v28, v13, v11
	v_mul_f32_e32 v13, v13, v12
	v_fma_f32 v13, v14, v11, -v13
	v_mul_f32_e32 v12, v17, v12
	v_fmac_f32_e32 v39, v17, v11
	v_fma_f32 v47, v18, v11, -v12
	v_sub_f32_e32 v0, v15, v0
	v_sub_f32_e32 v7, v16, v7
	v_sub_f32_e32 v18, v28, v68
	v_sub_f32_e32 v17, v13, v69
	v_fma_f32 v15, v15, 2.0, -v0
	v_fma_f32 v16, v16, 2.0, -v7
	;; [unrolled: 1-line block ×4, first 2 shown]
	v_add_f32_e32 v17, v0, v17
	v_lshlrev_b32_e32 v19, 8, v80
	v_sub_f32_e32 v13, v15, v14
	v_sub_f32_e32 v14, v16, v28
	v_fma_f32 v28, v0, 2.0, -v17
	v_lshl_or_b32 v0, v76, 2, v76
	v_fmac_f32_e32 v72, v27, v11
	v_fmac_f32_e32 v74, v29, v11
	v_add3_u32 v44, 0, v19, v71
	ds_read_b64 v[20:21], v51
	ds_read_b64 v[22:23], v43
	;; [unrolled: 1-line block ×3, first 2 shown]
	v_lshlrev_b32_e32 v11, 8, v81
	v_and_b32_e32 v0, 9, v0
	v_add3_u32 v27, 0, v11, v71
	v_lshlrev_b32_e32 v11, 8, v82
	v_sub_f32_e32 v18, v7, v18
	v_lshlrev_b32_e32 v0, 8, v0
	v_add3_u32 v19, 0, v11, v71
	v_lshlrev_b32_e32 v11, 8, v83
	v_lshlrev_b32_e32 v12, 8, v84
	v_fma_f32 v15, v15, 2.0, -v13
	v_fma_f32 v16, v16, 2.0, -v14
	;; [unrolled: 1-line block ×3, first 2 shown]
	v_add3_u32 v0, 0, v0, v71
	v_add3_u32 v11, 0, v11, v71
	;; [unrolled: 1-line block ×3, first 2 shown]
	ds_read_b64 v[30:31], v27
	ds_read_b64 v[32:33], v19
	;; [unrolled: 1-line block ×4, first 2 shown]
	s_waitcnt lgkmcnt(0)
	s_barrier
	ds_write2st64_b64 v0, v[15:16], v[28:29] offset1:1
	ds_write2st64_b64 v0, v[13:14], v[17:18] offset0:2 offset1:3
	v_sub_f32_e32 v0, v20, v66
	v_sub_f32_e32 v17, v47, v26
	v_fma_f32 v14, v47, 2.0, -v17
	v_add_f32_e32 v17, v0, v17
	v_lshlrev_b32_e32 v57, 2, v77
	v_sub_f32_e32 v7, v21, v67
	v_fma_f32 v15, v20, 2.0, -v0
	v_sub_f32_e32 v18, v39, v70
	v_fma_f32 v20, v0, 2.0, -v17
	v_or_b32_e32 v0, v57, v76
	v_fma_f32 v16, v21, 2.0, -v7
	v_fma_f32 v13, v39, 2.0, -v18
	v_and_b32_e32 v0, 0xf9, v0
	v_sub_f32_e32 v13, v15, v13
	v_sub_f32_e32 v14, v16, v14
	v_sub_f32_e32 v18, v7, v18
	v_lshlrev_b32_e32 v0, 8, v0
	v_fma_f32 v15, v15, 2.0, -v13
	v_fma_f32 v16, v16, 2.0, -v14
	;; [unrolled: 1-line block ×3, first 2 shown]
	v_add3_u32 v0, 0, v0, v71
	ds_write2st64_b64 v0, v[15:16], v[20:21] offset1:1
	ds_write2st64_b64 v0, v[13:14], v[17:18] offset0:2 offset1:3
	v_sub_f32_e32 v0, v22, v86
	v_sub_f32_e32 v7, v23, v87
	;; [unrolled: 1-line block ×4, first 2 shown]
	v_fma_f32 v13, v72, 2.0, -v18
	v_fma_f32 v14, v73, 2.0, -v17
	v_add_f32_e32 v17, v0, v17
	v_sub_f32_e32 v18, v7, v18
	v_fma_f32 v15, v22, 2.0, -v0
	v_fma_f32 v16, v23, 2.0, -v7
	;; [unrolled: 1-line block ×4, first 2 shown]
	v_sub_f32_e32 v0, v24, v88
	v_sub_f32_e32 v7, v25, v89
	;; [unrolled: 1-line block ×4, first 2 shown]
	v_fma_f32 v23, v85, 2.0, -v28
	v_add_f32_e32 v28, v0, v28
	v_sub_f32_e32 v29, v7, v26
	v_fma_f32 v24, v24, 2.0, -v0
	v_fma_f32 v25, v25, 2.0, -v7
	;; [unrolled: 1-line block ×4, first 2 shown]
	v_sub_f32_e32 v0, v30, v41
	v_sub_f32_e32 v7, v31, v95
	;; [unrolled: 1-line block ×4, first 2 shown]
	v_fma_f32 v22, v74, 2.0, -v26
	v_fma_f32 v26, v30, 2.0, -v0
	;; [unrolled: 1-line block ×5, first 2 shown]
	v_add_f32_e32 v45, v0, v45
	v_sub_f32_e32 v46, v7, v47
	v_sub_f32_e32 v30, v26, v30
	v_fma_f32 v47, v0, 2.0, -v45
	v_fma_f32 v48, v7, 2.0, -v46
	v_sub_f32_e32 v0, v32, v96
	v_sub_f32_e32 v7, v33, v97
	;; [unrolled: 1-line block ×4, first 2 shown]
	v_fma_f32 v40, v26, 2.0, -v30
	v_fma_f32 v26, v32, 2.0, -v0
	;; [unrolled: 1-line block ×5, first 2 shown]
	v_add_f32_e32 v59, v0, v59
	v_sub_f32_e32 v60, v7, v60
	v_fma_f32 v61, v0, 2.0, -v59
	v_fma_f32 v62, v7, 2.0, -v60
	v_sub_f32_e32 v0, v34, v100
	v_sub_f32_e32 v7, v35, v58
	;; [unrolled: 1-line block ×4, first 2 shown]
	v_fma_f32 v42, v35, 2.0, -v7
	v_sub_f32_e32 v58, v99, v103
	v_fma_f32 v35, v54, 2.0, -v65
	v_add_f32_e32 v65, v0, v65
	v_fma_f32 v49, v26, 2.0, -v32
	v_fma_f32 v26, v34, 2.0, -v0
	;; [unrolled: 1-line block ×4, first 2 shown]
	v_sub_f32_e32 v0, v36, v101
	v_sub_f32_e32 v52, v56, v52
	;; [unrolled: 1-line block ×4, first 2 shown]
	v_add_f32_e32 v72, v0, v52
	v_lshlrev_b32_e32 v58, 2, v79
	v_fma_f32 v63, v26, 2.0, -v34
	v_fma_f32 v26, v36, 2.0, -v0
	;; [unrolled: 1-line block ×3, first 2 shown]
	v_or_b32_e32 v0, v58, v76
	v_and_b32_e32 v0, 0xf9, v0
	v_sub_f32_e32 v13, v15, v13
	v_sub_f32_e32 v14, v16, v14
	;; [unrolled: 1-line block ×3, first 2 shown]
	v_fma_f32 v68, v7, 2.0, -v66
	v_sub_f32_e32 v7, v37, v102
	v_lshlrev_b32_e32 v0, 8, v0
	v_fma_f32 v15, v15, 2.0, -v13
	v_fma_f32 v16, v16, 2.0, -v14
	v_fma_f32 v64, v42, 2.0, -v35
	v_fma_f32 v42, v37, 2.0, -v7
	v_fma_f32 v37, v56, 2.0, -v52
	v_add3_u32 v0, 0, v0, v71
	v_lshlrev_b32_e32 v56, 2, v80
	ds_write2st64_b64 v0, v[15:16], v[20:21] offset1:1
	ds_write2st64_b64 v0, v[13:14], v[17:18] offset0:2 offset1:3
	v_or_b32_e32 v0, v56, v76
	v_and_b32_e32 v0, 0xf9, v0
	v_sub_f32_e32 v22, v24, v22
	v_sub_f32_e32 v23, v25, v23
	;; [unrolled: 1-line block ×3, first 2 shown]
	v_lshlrev_b32_e32 v0, 8, v0
	v_fma_f32 v24, v24, 2.0, -v22
	v_fma_f32 v25, v25, 2.0, -v23
	;; [unrolled: 1-line block ×3, first 2 shown]
	v_add3_u32 v0, 0, v0, v71
	v_lshlrev_b32_e32 v55, 2, v81
	ds_write2st64_b64 v0, v[24:25], v[38:39] offset1:1
	ds_write2st64_b64 v0, v[22:23], v[28:29] offset0:2 offset1:3
	v_or_b32_e32 v0, v55, v76
	v_and_b32_e32 v0, 0xf9, v0
	v_sub_f32_e32 v31, v41, v31
	v_lshlrev_b32_e32 v0, 8, v0
	v_fma_f32 v41, v41, 2.0, -v31
	v_sub_f32_e32 v73, v7, v54
	v_add3_u32 v0, 0, v0, v71
	v_lshlrev_b32_e32 v54, 2, v82
	ds_write2st64_b64 v0, v[40:41], v[47:48] offset1:1
	ds_write2st64_b64 v0, v[30:31], v[45:46] offset0:2 offset1:3
	v_or_b32_e32 v0, v54, v76
	v_and_b32_e32 v0, 0xf9, v0
	v_sub_f32_e32 v33, v50, v33
	v_lshlrev_b32_e32 v0, 8, v0
	v_fma_f32 v50, v50, 2.0, -v33
	v_fma_f32 v86, v7, 2.0, -v73
	v_add3_u32 v0, 0, v0, v71
	v_lshlrev_b32_e32 v7, 2, v83
	ds_write2st64_b64 v0, v[49:50], v[61:62] offset1:1
	ds_write2st64_b64 v0, v[32:33], v[59:60] offset0:2 offset1:3
	v_or_b32_e32 v0, v7, v76
	v_and_b32_e32 v0, 0xf9, v0
	v_lshlrev_b32_e32 v0, 8, v0
	v_add3_u32 v0, 0, v0, v71
	ds_write2st64_b64 v0, v[63:64], v[67:68] offset1:1
	ds_write2st64_b64 v0, v[34:35], v[65:66] offset0:2 offset1:3
	v_lshlrev_b32_e32 v0, 2, v84
	v_or_b32_e32 v13, v0, v76
	v_and_b32_e32 v13, 0xf9, v13
	v_sub_f32_e32 v36, v26, v36
	v_sub_f32_e32 v37, v42, v37
	v_lshlrev_b32_e32 v13, 8, v13
	v_fma_f32 v69, v26, 2.0, -v36
	v_fma_f32 v70, v42, 2.0, -v37
	v_add3_u32 v13, 0, v13, v71
	ds_write2st64_b64 v13, v[69:70], v[85:86] offset1:1
	ds_write2st64_b64 v13, v[36:37], v[72:73] offset0:2 offset1:3
	v_mul_u32_u24_e32 v13, 3, v76
	v_lshlrev_b32_e32 v59, 3, v13
	v_and_b32_e32 v13, 7, v80
	v_mul_u32_u24_e32 v14, 3, v13
	s_waitcnt lgkmcnt(0)
	s_barrier
	global_load_dwordx4 v[20:23], v59, s[16:17] offset:48
	v_lshlrev_b32_e32 v18, 3, v14
	v_and_b32_e32 v14, 7, v82
	v_mul_u32_u24_e32 v15, 3, v14
	v_lshlrev_b32_e32 v26, 3, v15
	global_load_dwordx4 v[28:31], v18, s[16:17] offset:48
	global_load_dwordx4 v[32:35], v26, s[16:17] offset:48
	v_and_b32_e32 v15, 7, v84
	v_mul_u32_u24_e32 v16, 3, v15
	v_lshlrev_b32_e32 v42, 3, v16
	global_load_dwordx4 v[36:39], v42, s[16:17] offset:48
	v_and_b32_e32 v52, 7, v77
	v_mul_u32_u24_e32 v16, 3, v52
	v_lshlrev_b32_e32 v68, 3, v16
	global_load_dwordx2 v[16:17], v68, s[16:17] offset:64
	global_load_dwordx2 v[24:25], v59, s[16:17] offset:64
	ds_read2st64_b64 v[45:48], v53 offset0:20 offset1:22
	global_load_dwordx2 v[40:41], v18, s[16:17] offset:64
	ds_read2st64_b64 v[60:63], v53 offset0:36 offset1:38
	ds_read2st64_b64 v[64:67], v53 offset0:24 offset1:26
	;; [unrolled: 1-line block ×3, first 2 shown]
	global_load_dwordx2 v[49:50], v26, s[16:17] offset:64
	v_and_or_b32 v13, v56, s6, v13
	v_lshlrev_b32_e32 v13, 8, v13
	v_add3_u32 v13, 0, v13, v71
	s_waitcnt vmcnt(7) lgkmcnt(3)
	v_mul_f32_e32 v18, v46, v21
	v_fmac_f32_e32 v18, v45, v20
	v_mul_f32_e32 v45, v45, v21
	s_waitcnt lgkmcnt(2)
	v_mul_f32_e32 v74, v61, v23
	v_fma_f32 v69, v46, v20, -v45
	v_fmac_f32_e32 v74, v60, v22
	v_mul_f32_e32 v45, v60, v23
	s_waitcnt lgkmcnt(1)
	v_mul_f32_e32 v90, v65, v21
	v_mul_f32_e32 v60, v64, v21
	v_fmac_f32_e32 v90, v64, v20
	v_fma_f32 v64, v65, v20, -v60
	s_waitcnt vmcnt(5)
	v_mul_f32_e32 v65, v67, v33
	v_mul_f32_e32 v33, v66, v33
	v_fmac_f32_e32 v65, v66, v32
	v_fma_f32 v66, v67, v32, -v33
	s_waitcnt lgkmcnt(0)
	v_mul_f32_e32 v67, v88, v35
	v_fmac_f32_e32 v67, v87, v34
	v_mul_f32_e32 v32, v87, v35
	v_mul_f32_e32 v87, v86, v23
	;; [unrolled: 1-line block ×4, first 2 shown]
	v_fma_f32 v89, v61, v22, -v45
	v_fmac_f32_e32 v87, v85, v22
	v_fma_f32 v85, v86, v22, -v60
	global_load_dwordx2 v[60:61], v42, s[16:17] offset:64
	v_mul_f32_e32 v26, v47, v29
	v_fmac_f32_e32 v70, v47, v28
	v_fma_f32 v26, v48, v28, -v26
	global_load_dwordx4 v[45:48], v68, s[16:17] offset:48
	v_mul_f32_e32 v72, v63, v31
	v_mul_f32_e32 v28, v62, v31
	v_fmac_f32_e32 v72, v62, v30
	v_fma_f32 v73, v63, v30, -v28
	ds_read2st64_b64 v[28:31], v53 offset0:28 offset1:30
	v_fma_f32 v68, v88, v34, -v32
	ds_read2st64_b64 v[32:35], v53 offset0:44 offset1:46
	s_waitcnt lgkmcnt(1)
	v_mul_f32_e32 v86, v29, v21
	v_fmac_f32_e32 v86, v28, v20
	v_mul_f32_e32 v28, v28, v21
	v_fma_f32 v88, v29, v20, -v28
	s_waitcnt vmcnt(6)
	v_mul_f32_e32 v28, v30, v37
	v_fma_f32 v91, v31, v36, -v28
	s_waitcnt lgkmcnt(0)
	v_mul_f32_e32 v28, v34, v39
	v_mul_f32_e32 v42, v31, v37
	;; [unrolled: 1-line block ×3, first 2 shown]
	v_fma_f32 v93, v35, v38, -v28
	v_mul_f32_e32 v94, v33, v23
	v_mul_f32_e32 v28, v32, v23
	v_fmac_f32_e32 v42, v30, v36
	v_fmac_f32_e32 v92, v34, v38
	;; [unrolled: 1-line block ×3, first 2 shown]
	v_fma_f32 v95, v33, v22, -v28
	ds_read_b64 v[32:33], v9
	ds_read2st64_b64 v[28:31], v53 offset0:32 offset1:34
	ds_read_b64 v[36:37], v51
	ds_read_b64 v[38:39], v43
	ds_read_b64 v[62:63], v53 offset:31744
	s_waitcnt lgkmcnt(4)
	v_mul_f32_e32 v96, v21, v33
	v_mul_f32_e32 v21, v21, v32
	v_fmac_f32_e32 v96, v20, v32
	v_fma_f32 v97, v20, v33, -v21
	ds_read2st64_b64 v[32:35], v53 offset0:50 offset1:52
	s_waitcnt lgkmcnt(4)
	v_mul_f32_e32 v98, v23, v29
	v_mul_f32_e32 v20, v23, v28
	v_fmac_f32_e32 v98, v22, v28
	v_fma_f32 v28, v22, v29, -v20
	s_waitcnt vmcnt(5) lgkmcnt(0)
	v_mul_f32_e32 v99, v33, v17
	v_mul_f32_e32 v17, v32, v17
	ds_read2st64_b64 v[20:23], v53 offset0:54 offset1:56
	v_fmac_f32_e32 v99, v32, v16
	v_fma_f32 v100, v33, v16, -v17
	s_waitcnt vmcnt(4)
	v_mul_f32_e32 v101, v35, v25
	v_mul_f32_e32 v16, v34, v25
	v_fmac_f32_e32 v101, v34, v24
	v_fma_f32 v102, v35, v24, -v16
	ds_read2st64_b64 v[32:35], v53 offset0:58 offset1:60
	s_waitcnt vmcnt(3) lgkmcnt(1)
	v_mul_f32_e32 v16, v20, v41
	v_fma_f32 v104, v21, v40, -v16
	v_mul_f32_e32 v16, v22, v25
	v_fma_f32 v106, v23, v24, -v16
	s_waitcnt vmcnt(2) lgkmcnt(0)
	v_mul_f32_e32 v107, v33, v50
	v_mul_f32_e32 v16, v32, v50
	v_fmac_f32_e32 v107, v32, v49
	v_fma_f32 v49, v33, v49, -v16
	v_add_u32_e32 v16, 0x6000, v53
	ds_read2_b32 v[16:17], v16 offset1:1
	v_mul_f32_e32 v103, v21, v41
	v_fmac_f32_e32 v103, v20, v40
	v_mul_f32_e32 v105, v23, v25
	v_mul_f32_e32 v20, v34, v25
	v_fmac_f32_e32 v105, v22, v24
	v_fma_f32 v109, v35, v24, -v20
	ds_read2st64_b64 v[20:23], v53 offset1:18
	s_waitcnt lgkmcnt(1)
	v_mul_f32_e32 v29, v17, v25
	v_fmac_f32_e32 v29, v24, v16
	v_mul_f32_e32 v16, v25, v16
	v_fma_f32 v16, v17, v24, -v16
	v_mul_f32_e32 v108, v35, v25
	v_fmac_f32_e32 v108, v34, v24
	s_waitcnt lgkmcnt(0)
	v_sub_f32_e32 v24, v20, v98
	v_sub_f32_e32 v25, v21, v28
	v_fma_f32 v20, v20, 2.0, -v24
	v_fma_f32 v21, v21, 2.0, -v25
	s_waitcnt vmcnt(0)
	v_mul_f32_e32 v50, v31, v48
	v_mul_f32_e32 v17, v30, v48
	v_fmac_f32_e32 v50, v30, v47
	v_fma_f32 v47, v31, v47, -v17
	v_mul_f32_e32 v48, v23, v46
	v_mul_f32_e32 v17, v22, v46
	v_fmac_f32_e32 v48, v22, v45
	v_fma_f32 v45, v23, v45, -v17
	v_sub_f32_e32 v23, v96, v29
	v_sub_f32_e32 v22, v97, v16
	v_fma_f32 v16, v96, 2.0, -v23
	v_fma_f32 v17, v97, 2.0, -v22
	v_sub_f32_e32 v16, v20, v16
	v_sub_f32_e32 v17, v21, v17
	v_add_f32_e32 v22, v24, v22
	v_sub_f32_e32 v23, v25, v23
	v_fma_f32 v20, v20, 2.0, -v16
	v_fma_f32 v21, v21, 2.0, -v17
	v_fma_f32 v24, v24, 2.0, -v22
	v_fma_f32 v25, v25, 2.0, -v23
	ds_read_b64 v[28:29], v44
	ds_read_b64 v[30:31], v27
	;; [unrolled: 1-line block ×5, first 2 shown]
	s_waitcnt lgkmcnt(0)
	s_barrier
	ds_write2st64_b64 v53, v[20:21], v[24:25] offset1:4
	ds_write2st64_b64 v53, v[16:17], v[22:23] offset0:8 offset1:12
	v_sub_f32_e32 v24, v36, v50
	v_sub_f32_e32 v25, v37, v47
	;; [unrolled: 1-line block ×4, first 2 shown]
	v_fma_f32 v20, v36, 2.0, -v24
	v_fma_f32 v21, v37, 2.0, -v25
	;; [unrolled: 1-line block ×4, first 2 shown]
	v_and_or_b32 v36, v57, s6, v52
	v_sub_f32_e32 v16, v20, v16
	v_sub_f32_e32 v17, v21, v17
	v_add_f32_e32 v22, v24, v22
	v_sub_f32_e32 v23, v25, v23
	v_lshlrev_b32_e32 v36, 8, v36
	v_fma_f32 v20, v20, 2.0, -v16
	v_fma_f32 v21, v21, 2.0, -v17
	;; [unrolled: 1-line block ×4, first 2 shown]
	v_add3_u32 v36, 0, v36, v71
	ds_write2st64_b64 v36, v[20:21], v[24:25] offset1:4
	ds_write2st64_b64 v36, v[16:17], v[22:23] offset0:8 offset1:12
	v_sub_f32_e32 v24, v38, v74
	v_sub_f32_e32 v25, v39, v89
	;; [unrolled: 1-line block ×4, first 2 shown]
	v_fma_f32 v20, v38, 2.0, -v24
	v_fma_f32 v21, v39, 2.0, -v25
	;; [unrolled: 1-line block ×4, first 2 shown]
	v_and_or_b32 v18, v58, s6, v76
	v_sub_f32_e32 v16, v20, v16
	v_sub_f32_e32 v17, v21, v17
	v_add_f32_e32 v22, v24, v22
	v_sub_f32_e32 v23, v25, v23
	v_lshlrev_b32_e32 v18, 8, v18
	v_fma_f32 v20, v20, 2.0, -v16
	v_fma_f32 v21, v21, 2.0, -v17
	;; [unrolled: 1-line block ×4, first 2 shown]
	v_add3_u32 v18, 0, v18, v71
	ds_write2st64_b64 v18, v[20:21], v[24:25] offset1:4
	ds_write2st64_b64 v18, v[16:17], v[22:23] offset0:8 offset1:12
	v_mul_f32_e32 v16, v62, v61
	v_sub_f32_e32 v24, v28, v72
	v_sub_f32_e32 v25, v29, v73
	;; [unrolled: 1-line block ×4, first 2 shown]
	v_fma_f32 v52, v63, v60, -v16
	v_fma_f32 v20, v28, 2.0, -v24
	v_fma_f32 v21, v29, 2.0, -v25
	v_fma_f32 v16, v70, 2.0, -v23
	v_fma_f32 v17, v26, 2.0, -v22
	v_sub_f32_e32 v16, v20, v16
	v_sub_f32_e32 v17, v21, v17
	v_add_f32_e32 v22, v24, v22
	v_sub_f32_e32 v23, v25, v23
	v_fma_f32 v20, v20, 2.0, -v16
	v_fma_f32 v21, v21, 2.0, -v17
	;; [unrolled: 1-line block ×4, first 2 shown]
	v_sub_f32_e32 v26, v30, v87
	v_sub_f32_e32 v39, v31, v85
	;; [unrolled: 1-line block ×4, first 2 shown]
	v_fma_f32 v30, v30, 2.0, -v26
	v_fma_f32 v31, v31, 2.0, -v39
	v_fma_f32 v28, v90, 2.0, -v37
	v_fma_f32 v29, v64, 2.0, -v36
	ds_write2st64_b64 v13, v[20:21], v[24:25] offset1:4
	ds_write2st64_b64 v13, v[16:17], v[22:23] offset0:8 offset1:12
	v_and_or_b32 v13, v55, s6, v76
	v_sub_f32_e32 v28, v30, v28
	v_sub_f32_e32 v29, v31, v29
	v_add_f32_e32 v36, v26, v36
	v_sub_f32_e32 v37, v39, v37
	v_lshlrev_b32_e32 v13, 8, v13
	v_fma_f32 v30, v30, 2.0, -v28
	v_fma_f32 v31, v31, 2.0, -v29
	;; [unrolled: 1-line block ×4, first 2 shown]
	v_sub_f32_e32 v26, v32, v67
	v_sub_f32_e32 v50, v33, v68
	;; [unrolled: 1-line block ×4, first 2 shown]
	v_add3_u32 v13, 0, v13, v71
	v_fma_f32 v45, v32, 2.0, -v26
	v_fma_f32 v46, v33, 2.0, -v50
	;; [unrolled: 1-line block ×4, first 2 shown]
	ds_write2st64_b64 v13, v[30:31], v[38:39] offset1:4
	ds_write2st64_b64 v13, v[28:29], v[36:37] offset0:8 offset1:12
	v_and_or_b32 v13, v54, s6, v14
	v_mul_f32_e32 v18, v63, v61
	v_sub_f32_e32 v32, v45, v32
	v_sub_f32_e32 v33, v46, v33
	v_add_f32_e32 v47, v26, v47
	v_sub_f32_e32 v48, v50, v48
	v_lshlrev_b32_e32 v13, 8, v13
	v_fmac_f32_e32 v18, v62, v60
	v_fma_f32 v45, v45, 2.0, -v32
	v_fma_f32 v46, v46, 2.0, -v33
	;; [unrolled: 1-line block ×4, first 2 shown]
	v_sub_f32_e32 v26, v34, v94
	v_sub_f32_e32 v65, v35, v95
	v_sub_f32_e32 v63, v86, v108
	v_sub_f32_e32 v62, v88, v109
	v_add3_u32 v13, 0, v13, v71
	v_fma_f32 v60, v34, 2.0, -v26
	v_fma_f32 v61, v35, 2.0, -v65
	;; [unrolled: 1-line block ×4, first 2 shown]
	ds_write2st64_b64 v13, v[45:46], v[49:50] offset1:4
	ds_write2st64_b64 v13, v[32:33], v[47:48] offset0:8 offset1:12
	v_and_or_b32 v13, v7, s6, v76
	v_sub_f32_e32 v34, v60, v34
	v_sub_f32_e32 v35, v61, v35
	v_add_f32_e32 v62, v26, v62
	v_sub_f32_e32 v63, v65, v63
	v_lshlrev_b32_e32 v13, 8, v13
	v_fma_f32 v60, v60, 2.0, -v34
	v_fma_f32 v61, v61, 2.0, -v35
	;; [unrolled: 1-line block ×4, first 2 shown]
	v_sub_f32_e32 v26, v40, v92
	v_sub_f32_e32 v70, v41, v93
	;; [unrolled: 1-line block ×4, first 2 shown]
	v_add3_u32 v13, 0, v13, v71
	v_fma_f32 v66, v40, 2.0, -v26
	v_fma_f32 v67, v41, 2.0, -v70
	;; [unrolled: 1-line block ×4, first 2 shown]
	ds_write2st64_b64 v13, v[60:61], v[64:65] offset1:4
	ds_write2st64_b64 v13, v[34:35], v[62:63] offset0:8 offset1:12
	v_and_or_b32 v13, v0, s6, v15
	v_sub_f32_e32 v40, v66, v40
	v_sub_f32_e32 v41, v67, v41
	v_add_f32_e32 v68, v26, v52
	v_sub_f32_e32 v69, v70, v18
	v_lshlrev_b32_e32 v13, 8, v13
	v_fma_f32 v66, v66, 2.0, -v40
	v_fma_f32 v67, v67, 2.0, -v41
	;; [unrolled: 1-line block ×4, first 2 shown]
	v_add3_u32 v13, 0, v13, v71
	ds_write2st64_b64 v13, v[66:67], v[72:73] offset1:4
	ds_write2st64_b64 v13, v[40:41], v[68:69] offset0:8 offset1:12
	s_waitcnt lgkmcnt(0)
	s_barrier
	s_and_saveexec_b64 s[6:7], s[0:1]
	s_cbranch_execz .LBB0_12
; %bb.11:
	v_and_b32_e32 v2, 31, v84
	v_mul_u32_u24_e32 v13, 3, v2
	v_lshlrev_b32_e32 v20, 3, v13
	global_load_dwordx4 v[13:16], v20, s[16:17] offset:240
	global_load_dwordx2 v[17:18], v20, s[16:17] offset:256
	v_or_b32_e32 v20, 0x60, v84
	v_mul_lo_u32 v20, v1, v20
	s_load_dwordx2 s[0:1], s[4:5], 0x8
	v_mov_b32_e32 v62, 3
	v_and_b32_e32 v60, 31, v83
	v_lshlrev_b32_sdwa v21, v62, v20 dst_sel:DWORD dst_unused:UNUSED_PAD src0_sel:DWORD src1_sel:BYTE_0
	v_lshlrev_b32_sdwa v20, v62, v20 dst_sel:DWORD dst_unused:UNUSED_PAD src0_sel:DWORD src1_sel:BYTE_1
	s_waitcnt lgkmcnt(0)
	global_load_dwordx2 v[24:25], v21, s[0:1]
	global_load_dwordx2 v[40:41], v20, s[0:1] offset:2048
	v_or_b32_e32 v20, 64, v2
	v_mul_lo_u32 v20, v1, v20
	v_or_b32_e32 v26, 64, v60
	v_mul_lo_u32 v26, v1, v26
	v_and_b32_e32 v61, 31, v82
	v_lshlrev_b32_sdwa v21, v62, v20 dst_sel:DWORD dst_unused:UNUSED_PAD src0_sel:DWORD src1_sel:BYTE_0
	v_lshlrev_b32_sdwa v20, v62, v20 dst_sel:DWORD dst_unused:UNUSED_PAD src0_sel:DWORD src1_sel:BYTE_1
	global_load_dwordx2 v[45:46], v21, s[0:1]
	global_load_dwordx2 v[47:48], v20, s[0:1] offset:2048
	v_or_b32_e32 v20, 32, v84
	v_mul_lo_u32 v20, v1, v20
	v_lshlrev_b32_sdwa v42, v62, v26 dst_sel:DWORD dst_unused:UNUSED_PAD src0_sel:DWORD src1_sel:BYTE_0
	v_lshlrev_b32_sdwa v26, v62, v26 dst_sel:DWORD dst_unused:UNUSED_PAD src0_sel:DWORD src1_sel:BYTE_1
	v_and_b32_e32 v118, 31, v77
	v_lshlrev_b32_sdwa v21, v62, v20 dst_sel:DWORD dst_unused:UNUSED_PAD src0_sel:DWORD src1_sel:BYTE_0
	v_lshlrev_b32_sdwa v20, v62, v20 dst_sel:DWORD dst_unused:UNUSED_PAD src0_sel:DWORD src1_sel:BYTE_1
	global_load_dwordx2 v[49:50], v21, s[0:1]
	global_load_dwordx2 v[63:64], v20, s[0:1] offset:2048
	v_mul_lo_u32 v20, v1, v2
	v_mul_lo_u32 v10, s12, v10
	;; [unrolled: 1-line block ×3, first 2 shown]
	v_lshlrev_b32_sdwa v21, v62, v20 dst_sel:DWORD dst_unused:UNUSED_PAD src0_sel:DWORD src1_sel:BYTE_0
	v_lshlrev_b32_sdwa v20, v62, v20 dst_sel:DWORD dst_unused:UNUSED_PAD src0_sel:DWORD src1_sel:BYTE_1
	global_load_dwordx2 v[65:66], v21, s[0:1]
	global_load_dwordx2 v[67:68], v20, s[0:1] offset:2048
	ds_read2st64_b64 v[20:23], v53 offset0:44 offset1:46
	ds_read2st64_b64 v[28:31], v53 offset0:28 offset1:30
	;; [unrolled: 1-line block ×3, first 2 shown]
	ds_read_b64 v[69:70], v12
	ds_read_b64 v[71:72], v11
	v_mul_u32_u24_e32 v12, 3, v60
	v_lshlrev_b32_e32 v12, 3, v12
	v_or_b32_e32 v11, 0x60, v83
	global_load_dwordx2 v[73:74], v12, s[16:17] offset:256
	global_load_dwordx4 v[36:39], v12, s[16:17] offset:240
	v_mul_lo_u32 v11, v1, v11
	v_lshlrev_b32_sdwa v12, v62, v11 dst_sel:DWORD dst_unused:UNUSED_PAD src0_sel:DWORD src1_sel:BYTE_0
	v_lshlrev_b32_sdwa v11, v62, v11 dst_sel:DWORD dst_unused:UNUSED_PAD src0_sel:DWORD src1_sel:BYTE_1
	global_load_dwordx2 v[84:85], v12, s[0:1]
	global_load_dwordx2 v[86:87], v11, s[0:1] offset:2048
	global_load_dwordx2 v[88:89], v42, s[0:1]
	global_load_dwordx2 v[90:91], v26, s[0:1] offset:2048
	s_waitcnt vmcnt(15) lgkmcnt(4)
	v_mul_f32_e32 v11, v22, v16
	s_waitcnt lgkmcnt(3)
	v_mul_f32_e32 v12, v31, v14
	s_waitcnt vmcnt(14) lgkmcnt(2)
	v_mul_f32_e32 v26, v35, v18
	v_mul_f32_e32 v14, v30, v14
	;; [unrolled: 1-line block ×4, first 2 shown]
	v_fma_f32 v11, v23, v15, -v11
	v_fmac_f32_e32 v12, v30, v13
	v_fma_f32 v13, v31, v13, -v14
	v_fma_f32 v14, v35, v17, -v18
	v_fmac_f32_e32 v26, v34, v17
	v_fmac_f32_e32 v16, v22, v15
	s_waitcnt lgkmcnt(1)
	v_sub_f32_e32 v15, v70, v11
	v_sub_f32_e32 v14, v13, v14
	;; [unrolled: 1-line block ×4, first 2 shown]
	s_waitcnt vmcnt(12)
	v_mul_f32_e32 v18, v25, v41
	v_mul_f32_e32 v23, v24, v41
	v_fma_f32 v30, v70, 2.0, -v15
	v_fma_f32 v13, v13, 2.0, -v14
	v_sub_f32_e32 v17, v15, v11
	v_add_f32_e32 v22, v16, v14
	v_fma_f32 v31, v69, 2.0, -v16
	v_fma_f32 v11, v12, 2.0, -v11
	v_fma_f32 v14, v24, v40, -v18
	v_fmac_f32_e32 v23, v25, v40
	v_sub_f32_e32 v18, v30, v13
	s_waitcnt vmcnt(10)
	v_mul_f32_e32 v13, v45, v48
	v_mul_f32_e32 v12, v46, v48
	v_sub_f32_e32 v34, v31, v11
	v_mul_f32_e32 v24, v22, v23
	v_mul_f32_e32 v11, v17, v23
	v_fmac_f32_e32 v13, v46, v47
	v_fma_f32 v23, v45, v47, -v12
	v_fma_f32 v12, v17, v14, -v24
	v_fmac_f32_e32 v11, v22, v14
	v_mul_f32_e32 v14, v34, v13
	v_mul_f32_e32 v13, v18, v13
	v_fma_f32 v14, v18, v23, -v14
	v_fmac_f32_e32 v13, v34, v23
	v_or_b32_e32 v23, 32, v83
	v_mul_lo_u32 v23, v1, v23
	v_fma_f32 v22, v16, 2.0, -v22
	s_waitcnt vmcnt(8)
	v_mul_f32_e32 v35, v49, v64
	v_fma_f32 v15, v15, 2.0, -v17
	v_lshlrev_b32_sdwa v16, v62, v23 dst_sel:DWORD dst_unused:UNUSED_PAD src0_sel:DWORD src1_sel:BYTE_0
	v_lshlrev_b32_sdwa v40, v62, v23 dst_sel:DWORD dst_unused:UNUSED_PAD src0_sel:DWORD src1_sel:BYTE_1
	global_load_dwordx2 v[23:24], v16, s[0:1]
	global_load_dwordx2 v[25:26], v40, s[0:1] offset:2048
	v_mul_f32_e32 v17, v50, v64
	v_fmac_f32_e32 v35, v50, v63
	v_fma_f32 v17, v49, v63, -v17
	v_mul_f32_e32 v16, v22, v35
	v_fma_f32 v16, v15, v17, -v16
	v_mul_f32_e32 v15, v15, v35
	v_fmac_f32_e32 v15, v22, v17
	v_fma_f32 v17, v30, 2.0, -v18
	s_waitcnt vmcnt(8)
	v_mul_f32_e32 v18, v66, v68
	v_fma_f32 v22, v65, v67, -v18
	v_mul_lo_u32 v18, v1, v60
	v_fma_f32 v40, v31, 2.0, -v34
	v_mul_f32_e32 v41, v65, v68
	v_fmac_f32_e32 v41, v66, v67
	v_lshlrev_b32_sdwa v42, v62, v18 dst_sel:DWORD dst_unused:UNUSED_PAD src0_sel:DWORD src1_sel:BYTE_0
	v_lshlrev_b32_sdwa v18, v62, v18 dst_sel:DWORD dst_unused:UNUSED_PAD src0_sel:DWORD src1_sel:BYTE_1
	global_load_dwordx2 v[30:31], v42, s[0:1]
	global_load_dwordx2 v[34:35], v18, s[0:1] offset:2048
	v_mul_f32_e32 v18, v40, v41
	v_fma_f32 v18, v17, v22, -v18
	v_mul_f32_e32 v17, v17, v41
	v_mul_u32_u24_e32 v41, 3, v61
	v_lshlrev_b32_e32 v41, 3, v41
	ds_read_b64 v[49:50], v19
	global_load_dwordx2 v[92:93], v41, s[16:17] offset:256
	global_load_dwordx4 v[45:48], v41, s[16:17] offset:240
	v_fmac_f32_e32 v17, v40, v22
	s_waitcnt vmcnt(10)
	v_mul_f32_e32 v22, v20, v39
	v_fma_f32 v22, v21, v38, -v22
	s_waitcnt lgkmcnt(1)
	v_sub_f32_e32 v40, v72, v22
	v_mul_f32_e32 v22, v29, v37
	v_mul_f32_e32 v19, v33, v74
	v_fmac_f32_e32 v22, v28, v36
	v_fmac_f32_e32 v19, v32, v73
	v_sub_f32_e32 v41, v22, v19
	s_waitcnt vmcnt(8)
	v_mul_f32_e32 v19, v85, v87
	v_fma_f32 v52, v84, v86, -v19
	v_mul_f32_e32 v19, v21, v39
	v_fmac_f32_e32 v19, v20, v38
	v_or_b32_e32 v20, 0x60, v82
	v_mul_lo_u32 v20, v1, v20
	v_sub_f32_e32 v38, v71, v19
	v_mul_f32_e32 v19, v28, v37
	v_fma_f32 v21, v29, v36, -v19
	v_mul_f32_e32 v19, v32, v74
	v_fma_f32 v19, v33, v73, -v19
	v_lshlrev_b32_sdwa v36, v62, v20 dst_sel:DWORD dst_unused:UNUSED_PAD src0_sel:DWORD src1_sel:BYTE_0
	v_lshlrev_b32_sdwa v20, v62, v20 dst_sel:DWORD dst_unused:UNUSED_PAD src0_sel:DWORD src1_sel:BYTE_1
	global_load_dwordx2 v[28:29], v36, s[0:1]
	global_load_dwordx2 v[32:33], v20, s[0:1] offset:2048
	v_sub_f32_e32 v36, v21, v19
	v_mul_f32_e32 v19, v84, v87
	v_sub_f32_e32 v42, v40, v41
	v_add_f32_e32 v37, v38, v36
	v_fmac_f32_e32 v19, v85, v86
	v_fma_f32 v39, v72, 2.0, -v40
	v_fma_f32 v21, v21, 2.0, -v36
	v_mul_f32_e32 v20, v37, v19
	v_mul_f32_e32 v19, v42, v19
	v_sub_f32_e32 v36, v39, v21
	s_waitcnt vmcnt(8)
	v_mul_f32_e32 v21, v89, v91
	v_fma_f32 v20, v42, v52, -v20
	v_fmac_f32_e32 v19, v37, v52
	v_fma_f32 v52, v88, v90, -v21
	v_fma_f32 v21, v22, 2.0, -v41
	v_or_b32_e32 v22, 64, v61
	v_mul_lo_u32 v64, v1, v22
	v_fma_f32 v40, v40, 2.0, -v42
	v_fma_f32 v63, v71, 2.0, -v38
	v_sub_f32_e32 v41, v63, v21
	v_lshlrev_b32_sdwa v65, v62, v64 dst_sel:DWORD dst_unused:UNUSED_PAD src0_sel:DWORD src1_sel:BYTE_0
	v_lshlrev_b32_sdwa v64, v62, v64 dst_sel:DWORD dst_unused:UNUSED_PAD src0_sel:DWORD src1_sel:BYTE_1
	global_load_dwordx2 v[73:74], v65, s[0:1]
	global_load_dwordx2 v[83:84], v64, s[0:1] offset:2048
	v_mul_f32_e32 v21, v88, v91
	v_fmac_f32_e32 v21, v89, v90
	v_fma_f32 v37, v38, 2.0, -v37
	v_mul_f32_e32 v22, v41, v21
	v_fma_f32 v22, v36, v52, -v22
	v_mul_f32_e32 v21, v36, v21
	v_fmac_f32_e32 v21, v41, v52
	s_waitcnt vmcnt(8)
	v_mul_f32_e32 v42, v24, v26
	v_fma_f32 v42, v23, v25, -v42
	v_mul_f32_e32 v23, v23, v26
	v_fmac_f32_e32 v23, v24, v25
	v_or_b32_e32 v25, 32, v82
	v_mul_lo_u32 v25, v1, v25
	v_mul_f32_e32 v24, v37, v23
	v_mul_f32_e32 v23, v40, v23
	v_fmac_f32_e32 v23, v37, v42
	v_lshlrev_b32_sdwa v26, v62, v25 dst_sel:DWORD dst_unused:UNUSED_PAD src0_sel:DWORD src1_sel:BYTE_0
	v_lshlrev_b32_sdwa v25, v62, v25 dst_sel:DWORD dst_unused:UNUSED_PAD src0_sel:DWORD src1_sel:BYTE_1
	global_load_dwordx2 v[85:86], v26, s[0:1]
	global_load_dwordx2 v[87:88], v25, s[0:1] offset:2048
	v_fma_f32 v25, v39, 2.0, -v36
	v_fma_f32 v24, v40, v42, -v24
	v_fma_f32 v40, v63, 2.0, -v41
	v_and_b32_e32 v63, 31, v81
	s_waitcnt vmcnt(8)
	v_mul_f32_e32 v26, v31, v35
	v_fma_f32 v39, v30, v34, -v26
	v_mul_f32_e32 v30, v30, v35
	v_fmac_f32_e32 v30, v31, v34
	v_mul_lo_u32 v31, v1, v61
	ds_read2st64_b64 v[35:38], v53 offset0:40 offset1:42
	v_mul_f32_e32 v26, v40, v30
	v_fma_f32 v26, v25, v39, -v26
	v_lshlrev_b32_sdwa v34, v62, v31 dst_sel:DWORD dst_unused:UNUSED_PAD src0_sel:DWORD src1_sel:BYTE_0
	v_lshlrev_b32_sdwa v31, v62, v31 dst_sel:DWORD dst_unused:UNUSED_PAD src0_sel:DWORD src1_sel:BYTE_1
	global_load_dwordx2 v[89:90], v34, s[0:1]
	global_load_dwordx2 v[94:95], v31, s[0:1] offset:2048
	ds_read_b64 v[96:97], v27
	v_mul_u32_u24_e32 v27, 3, v63
	v_mul_f32_e32 v25, v25, v30
	v_lshlrev_b32_e32 v27, 3, v27
	v_fmac_f32_e32 v25, v40, v39
	ds_read2st64_b64 v[39:42], v53 offset0:24 offset1:26
	ds_read2st64_b64 v[65:68], v53 offset0:56 offset1:58
	global_load_dwordx2 v[98:99], v27, s[16:17] offset:256
	global_load_dwordx4 v[69:72], v27, s[16:17] offset:240
	s_waitcnt vmcnt(10) lgkmcnt(3)
	v_mul_f32_e32 v30, v37, v48
	v_fma_f32 v30, v38, v47, -v30
	v_sub_f32_e32 v31, v50, v30
	s_waitcnt lgkmcnt(1)
	v_mul_f32_e32 v30, v42, v46
	s_waitcnt lgkmcnt(0)
	v_mul_f32_e32 v27, v68, v93
	v_fmac_f32_e32 v30, v41, v45
	v_fmac_f32_e32 v27, v67, v92
	v_sub_f32_e32 v34, v30, v27
	v_or_b32_e32 v27, 0x60, v81
	v_mul_lo_u32 v27, v1, v27
	v_mul_f32_e32 v38, v38, v48
	v_fmac_f32_e32 v38, v37, v47
	v_sub_f32_e32 v47, v49, v38
	v_lshlrev_b32_sdwa v48, v62, v27 dst_sel:DWORD dst_unused:UNUSED_PAD src0_sel:DWORD src1_sel:BYTE_0
	v_lshlrev_b32_sdwa v27, v62, v27 dst_sel:DWORD dst_unused:UNUSED_PAD src0_sel:DWORD src1_sel:BYTE_1
	global_load_dwordx2 v[100:101], v48, s[0:1]
	global_load_dwordx2 v[102:103], v27, s[0:1] offset:2048
	v_mul_f32_e32 v27, v41, v46
	v_fma_f32 v37, v42, v45, -v27
	v_mul_f32_e32 v27, v67, v93
	v_fma_f32 v27, v68, v92, -v27
	v_sub_f32_e32 v38, v37, v27
	s_waitcnt vmcnt(10)
	v_mul_f32_e32 v27, v28, v33
	v_mul_f32_e32 v64, v29, v33
	v_fmac_f32_e32 v27, v29, v32
	v_fma_f32 v33, v50, 2.0, -v31
	v_fma_f32 v29, v37, 2.0, -v38
	v_sub_f32_e32 v46, v33, v29
	v_or_b32_e32 v29, 64, v63
	v_mul_lo_u32 v29, v1, v29
	v_fma_f32 v48, v49, 2.0, -v47
	v_add_f32_e32 v45, v47, v38
	v_sub_f32_e32 v52, v31, v34
	v_lshlrev_b32_sdwa v49, v62, v29 dst_sel:DWORD dst_unused:UNUSED_PAD src0_sel:DWORD src1_sel:BYTE_0
	v_lshlrev_b32_sdwa v29, v62, v29 dst_sel:DWORD dst_unused:UNUSED_PAD src0_sel:DWORD src1_sel:BYTE_1
	global_load_dwordx2 v[37:38], v49, s[0:1]
	global_load_dwordx2 v[41:42], v29, s[0:1] offset:2048
	v_fma_f32 v29, v30, 2.0, -v34
	v_sub_f32_e32 v34, v48, v29
	s_waitcnt vmcnt(10)
	v_mul_f32_e32 v29, v73, v84
	v_fma_f32 v64, v28, v32, -v64
	v_mul_f32_e32 v32, v74, v84
	v_fmac_f32_e32 v29, v74, v83
	v_fma_f32 v32, v73, v83, -v32
	v_mul_f32_e32 v30, v34, v29
	v_mul_f32_e32 v29, v46, v29
	v_fma_f32 v30, v46, v32, -v30
	v_fmac_f32_e32 v29, v34, v32
	v_or_b32_e32 v32, 32, v81
	v_mul_lo_u32 v32, v1, v32
	v_mul_f32_e32 v28, v45, v27
	v_mul_f32_e32 v27, v52, v27
	v_fmac_f32_e32 v27, v45, v64
	v_fma_f32 v45, v47, 2.0, -v45
	v_lshlrev_b32_sdwa v47, v62, v32 dst_sel:DWORD dst_unused:UNUSED_PAD src0_sel:DWORD src1_sel:BYTE_0
	v_fma_f32 v28, v52, v64, -v28
	v_fma_f32 v31, v31, 2.0, -v52
	s_waitcnt vmcnt(8)
	v_mul_f32_e32 v49, v86, v88
	v_fma_f32 v52, v85, v87, -v49
	v_lshlrev_b32_sdwa v32, v62, v32 dst_sel:DWORD dst_unused:UNUSED_PAD src0_sel:DWORD src1_sel:BYTE_1
	global_load_dwordx2 v[49:50], v47, s[0:1]
	global_load_dwordx2 v[67:68], v32, s[0:1] offset:2048
	v_fma_f32 v33, v33, 2.0, -v46
	v_mul_lo_u32 v46, v1, v63
	v_mul_f32_e32 v47, v85, v88
	v_fmac_f32_e32 v47, v86, v87
	v_mul_f32_e32 v32, v45, v47
	v_fma_f32 v32, v31, v52, -v32
	v_mul_f32_e32 v31, v31, v47
	v_fma_f32 v47, v48, 2.0, -v34
	v_lshlrev_b32_sdwa v34, v62, v46 dst_sel:DWORD dst_unused:UNUSED_PAD src0_sel:DWORD src1_sel:BYTE_0
	v_lshlrev_b32_sdwa v46, v62, v46 dst_sel:DWORD dst_unused:UNUSED_PAD src0_sel:DWORD src1_sel:BYTE_1
	global_load_dwordx2 v[73:74], v34, s[0:1]
	global_load_dwordx2 v[81:82], v46, s[0:1] offset:2048
	v_fmac_f32_e32 v31, v45, v52
	s_waitcnt vmcnt(10)
	v_mul_f32_e32 v48, v89, v95
	v_mul_f32_e32 v45, v90, v95
	v_fmac_f32_e32 v48, v90, v94
	v_fma_f32 v45, v89, v94, -v45
	v_mul_f32_e32 v34, v47, v48
	v_fma_f32 v34, v33, v45, -v34
	v_mul_f32_e32 v33, v33, v48
	v_fmac_f32_e32 v33, v47, v45
	s_waitcnt vmcnt(8)
	v_mul_f32_e32 v45, v35, v72
	v_fma_f32 v45, v36, v71, -v45
	v_mul_f32_e32 v36, v36, v72
	v_and_b32_e32 v64, 31, v80
	v_fmac_f32_e32 v36, v35, v71
	v_or_b32_e32 v35, 0x60, v80
	v_sub_f32_e32 v52, v97, v45
	v_mul_u32_u24_e32 v45, 3, v64
	v_mul_lo_u32 v35, v1, v35
	v_lshlrev_b32_e32 v85, 3, v45
	global_load_dwordx2 v[88:89], v85, s[16:17] offset:256
	global_load_dwordx4 v[45:48], v85, s[16:17] offset:240
	v_mul_f32_e32 v83, v40, v70
	v_sub_f32_e32 v71, v96, v36
	v_mul_f32_e32 v36, v39, v70
	v_fmac_f32_e32 v83, v39, v69
	v_fma_f32 v39, v40, v69, -v36
	v_lshlrev_b32_sdwa v40, v62, v35 dst_sel:DWORD dst_unused:UNUSED_PAD src0_sel:DWORD src1_sel:BYTE_0
	v_lshlrev_b32_sdwa v35, v62, v35 dst_sel:DWORD dst_unused:UNUSED_PAD src0_sel:DWORD src1_sel:BYTE_1
	global_load_dwordx2 v[90:91], v40, s[0:1]
	global_load_dwordx2 v[92:93], v35, s[0:1] offset:2048
	v_mul_f32_e32 v84, v66, v99
	v_mul_f32_e32 v36, v65, v99
	v_fmac_f32_e32 v84, v65, v98
	v_fma_f32 v35, v66, v98, -v36
	v_sub_f32_e32 v84, v83, v84
	v_sub_f32_e32 v40, v39, v35
	v_add_f32_e32 v65, v71, v40
	v_fma_f32 v39, v39, 2.0, -v40
	v_fma_f32 v70, v96, 2.0, -v71
	;; [unrolled: 1-line block ×3, first 2 shown]
	v_sub_f32_e32 v72, v70, v40
	v_or_b32_e32 v40, 64, v64
	v_mul_lo_u32 v40, v1, v40
	v_fma_f32 v66, v97, 2.0, -v52
	v_sub_f32_e32 v69, v66, v39
	s_waitcnt vmcnt(10)
	v_mul_f32_e32 v35, v100, v103
	s_waitcnt vmcnt(8)
	v_mul_f32_e32 v39, v38, v42
	v_fma_f32 v39, v37, v41, -v39
	v_mul_f32_e32 v37, v37, v42
	v_fmac_f32_e32 v37, v38, v41
	v_lshlrev_b32_sdwa v41, v62, v40 dst_sel:DWORD dst_unused:UNUSED_PAD src0_sel:DWORD src1_sel:BYTE_0
	v_lshlrev_b32_sdwa v40, v62, v40 dst_sel:DWORD dst_unused:UNUSED_PAD src0_sel:DWORD src1_sel:BYTE_1
	global_load_dwordx2 v[94:95], v41, s[0:1]
	global_load_dwordx2 v[96:97], v40, s[0:1] offset:2048
	v_sub_f32_e32 v85, v52, v84
	v_mul_f32_e32 v86, v101, v103
	v_fmac_f32_e32 v35, v101, v102
	v_mul_f32_e32 v38, v72, v37
	v_mul_f32_e32 v37, v69, v37
	v_fma_f32 v42, v71, 2.0, -v65
	v_fma_f32 v86, v100, v102, -v86
	v_mul_f32_e32 v36, v65, v35
	v_mul_f32_e32 v35, v85, v35
	v_fma_f32 v38, v69, v39, -v38
	v_fmac_f32_e32 v37, v72, v39
	v_fma_f32 v39, v52, 2.0, -v85
	v_fmac_f32_e32 v35, v65, v86
	v_fma_f32 v36, v85, v86, -v36
	s_waitcnt vmcnt(8)
	v_mul_f32_e32 v40, v50, v68
	v_fma_f32 v41, v49, v67, -v40
	v_mul_f32_e32 v49, v49, v68
	v_or_b32_e32 v40, 32, v80
	v_fmac_f32_e32 v49, v50, v67
	v_mul_lo_u32 v50, v1, v40
	v_mul_f32_e32 v40, v42, v49
	v_fma_f32 v40, v39, v41, -v40
	v_mul_f32_e32 v39, v39, v49
	v_lshlrev_b32_sdwa v52, v62, v50 dst_sel:DWORD dst_unused:UNUSED_PAD src0_sel:DWORD src1_sel:BYTE_0
	v_lshlrev_b32_sdwa v65, v62, v50 dst_sel:DWORD dst_unused:UNUSED_PAD src0_sel:DWORD src1_sel:BYTE_1
	global_load_dwordx2 v[49:50], v52, s[0:1]
	global_load_dwordx2 v[98:99], v65, s[0:1] offset:2048
	v_fma_f32 v65, v70, 2.0, -v72
	v_mul_lo_u32 v70, v1, v64
	v_fmac_f32_e32 v39, v42, v41
	v_fma_f32 v41, v66, 2.0, -v69
	s_waitcnt vmcnt(8)
	v_mul_f32_e32 v66, v73, v82
	v_mul_f32_e32 v42, v74, v82
	v_fmac_f32_e32 v66, v74, v81
	v_fma_f32 v52, v73, v81, -v42
	v_mul_f32_e32 v42, v65, v66
	v_lshlrev_b32_sdwa v71, v62, v70 dst_sel:DWORD dst_unused:UNUSED_PAD src0_sel:DWORD src1_sel:BYTE_0
	v_fma_f32 v42, v41, v52, -v42
	v_mul_f32_e32 v41, v41, v66
	ds_read2st64_b64 v[66:69], v53 offset0:36 offset1:38
	v_lshlrev_b32_sdwa v70, v62, v70 dst_sel:DWORD dst_unused:UNUSED_PAD src0_sel:DWORD src1_sel:BYTE_1
	global_load_dwordx2 v[100:101], v71, s[0:1]
	global_load_dwordx2 v[102:103], v70, s[0:1] offset:2048
	ds_read_b64 v[104:105], v44
	ds_read2st64_b64 v[70:73], v53 offset0:20 offset1:22
	ds_read2st64_b64 v[80:83], v53 offset0:52 offset1:54
	v_fmac_f32_e32 v41, v65, v52
	v_and_b32_e32 v65, 31, v79
	ds_read_b64 v[106:107], v43
	v_mul_u32_u24_e32 v43, 3, v65
	s_waitcnt vmcnt(8) lgkmcnt(4)
	v_mul_f32_e32 v44, v68, v48
	v_lshlrev_b32_e32 v43, 3, v43
	v_fma_f32 v44, v69, v47, -v44
	s_waitcnt lgkmcnt(2)
	v_mul_f32_e32 v74, v73, v46
	global_load_dwordx2 v[108:109], v43, s[16:17] offset:256
	global_load_dwordx4 v[84:87], v43, s[16:17] offset:240
	s_waitcnt lgkmcnt(1)
	v_mul_f32_e32 v43, v83, v89
	v_sub_f32_e32 v52, v105, v44
	v_fmac_f32_e32 v74, v72, v45
	v_fmac_f32_e32 v43, v82, v88
	v_or_b32_e32 v44, 0x60, v79
	v_sub_f32_e32 v110, v74, v43
	s_waitcnt vmcnt(8)
	v_mul_f32_e32 v43, v91, v93
	v_mul_lo_u32 v44, v1, v44
	v_fma_f32 v112, v90, v92, -v43
	v_mul_f32_e32 v43, v69, v48
	v_fmac_f32_e32 v43, v68, v47
	v_sub_f32_e32 v47, v104, v43
	v_mul_f32_e32 v43, v72, v46
	v_fma_f32 v45, v73, v45, -v43
	v_mul_f32_e32 v43, v82, v89
	v_lshlrev_b32_sdwa v82, v62, v44 dst_sel:DWORD dst_unused:UNUSED_PAD src0_sel:DWORD src1_sel:BYTE_0
	v_lshlrev_b32_sdwa v44, v62, v44 dst_sel:DWORD dst_unused:UNUSED_PAD src0_sel:DWORD src1_sel:BYTE_1
	global_load_dwordx2 v[68:69], v82, s[0:1]
	global_load_dwordx2 v[72:73], v44, s[0:1] offset:2048
	v_fma_f32 v43, v83, v88, -v43
	v_sub_f32_e32 v46, v45, v43
	v_fma_f32 v88, v105, 2.0, -v52
	v_fma_f32 v45, v45, 2.0, -v46
	v_sub_f32_e32 v89, v88, v45
	v_mul_f32_e32 v43, v90, v93
	s_waitcnt vmcnt(8)
	v_mul_f32_e32 v45, v95, v97
	v_fma_f32 v90, v94, v96, -v45
	v_or_b32_e32 v45, 64, v65
	v_mul_lo_u32 v45, v1, v45
	v_add_f32_e32 v48, v47, v46
	v_fmac_f32_e32 v43, v91, v92
	v_fma_f32 v91, v104, 2.0, -v47
	v_fma_f32 v46, v74, 2.0, -v110
	v_mul_f32_e32 v94, v94, v97
	v_sub_f32_e32 v74, v91, v46
	v_lshlrev_b32_sdwa v46, v62, v45 dst_sel:DWORD dst_unused:UNUSED_PAD src0_sel:DWORD src1_sel:BYTE_0
	v_lshlrev_b32_sdwa v45, v62, v45 dst_sel:DWORD dst_unused:UNUSED_PAD src0_sel:DWORD src1_sel:BYTE_1
	v_fmac_f32_e32 v94, v95, v96
	global_load_dwordx2 v[82:83], v46, s[0:1]
	global_load_dwordx2 v[92:93], v45, s[0:1] offset:2048
	v_mul_f32_e32 v45, v74, v94
	v_fma_f32 v46, v89, v90, -v45
	v_mul_f32_e32 v45, v89, v94
	v_fmac_f32_e32 v45, v74, v90
	v_fma_f32 v94, v47, 2.0, -v48
	v_sub_f32_e32 v111, v52, v110
	v_mul_f32_e32 v44, v48, v43
	v_mul_f32_e32 v43, v111, v43
	v_fma_f32 v52, v52, 2.0, -v111
	v_fmac_f32_e32 v43, v48, v112
	v_fma_f32 v74, v91, 2.0, -v74
	v_fma_f32 v44, v111, v112, -v44
	s_waitcnt vmcnt(8)
	v_mul_f32_e32 v90, v50, v99
	v_fma_f32 v90, v49, v98, -v90
	v_mul_f32_e32 v47, v49, v99
	v_or_b32_e32 v49, 32, v79
	v_mul_lo_u32 v49, v1, v49
	v_fmac_f32_e32 v47, v50, v98
	v_mul_f32_e32 v48, v94, v47
	v_mul_f32_e32 v47, v52, v47
	v_lshlrev_b32_sdwa v50, v62, v49 dst_sel:DWORD dst_unused:UNUSED_PAD src0_sel:DWORD src1_sel:BYTE_0
	v_lshlrev_b32_sdwa v49, v62, v49 dst_sel:DWORD dst_unused:UNUSED_PAD src0_sel:DWORD src1_sel:BYTE_1
	v_fmac_f32_e32 v47, v94, v90
	global_load_dwordx2 v[94:95], v50, s[0:1]
	global_load_dwordx2 v[96:97], v49, s[0:1] offset:2048
	v_fma_f32 v48, v52, v90, -v48
	v_fma_f32 v52, v88, 2.0, -v89
	s_waitcnt vmcnt(8)
	v_mul_f32_e32 v49, v101, v103
	v_fma_f32 v79, v100, v102, -v49
	v_mul_lo_u32 v49, v1, v65
	v_mul_f32_e32 v88, v100, v103
	v_fmac_f32_e32 v88, v101, v102
	v_lshlrev_b32_sdwa v50, v62, v49 dst_sel:DWORD dst_unused:UNUSED_PAD src0_sel:DWORD src1_sel:BYTE_0
	v_lshlrev_b32_sdwa v49, v62, v49 dst_sel:DWORD dst_unused:UNUSED_PAD src0_sel:DWORD src1_sel:BYTE_1
	global_load_dwordx2 v[98:99], v50, s[0:1]
	global_load_dwordx2 v[100:101], v49, s[0:1] offset:2048
	v_mul_f32_e32 v49, v74, v88
	v_fma_f32 v50, v52, v79, -v49
	v_mul_f32_e32 v49, v52, v88
	v_fmac_f32_e32 v49, v74, v79
	v_mul_u32_u24_e32 v74, 3, v118
	v_lshlrev_b32_e32 v74, 3, v74
	global_load_dwordx2 v[102:103], v74, s[16:17] offset:256
	global_load_dwordx4 v[88:91], v74, s[16:17] offset:240
	ds_read_b64 v[104:105], v51
	v_or_b32_e32 v51, 0x60, v77
	v_mul_lo_u32 v51, v1, v51
	s_waitcnt vmcnt(10)
	v_mul_f32_e32 v52, v66, v87
	v_mul_f32_e32 v79, v71, v85
	v_fma_f32 v52, v67, v86, -v52
	v_lshlrev_b32_sdwa v114, v62, v51 dst_sel:DWORD dst_unused:UNUSED_PAD src0_sel:DWORD src1_sel:BYTE_0
	v_lshlrev_b32_sdwa v51, v62, v51 dst_sel:DWORD dst_unused:UNUSED_PAD src0_sel:DWORD src1_sel:BYTE_1
	global_load_dwordx2 v[110:111], v114, s[0:1]
	global_load_dwordx2 v[112:113], v51, s[0:1] offset:2048
	v_mul_f32_e32 v51, v67, v87
	v_fmac_f32_e32 v51, v66, v86
	s_waitcnt lgkmcnt(1)
	v_sub_f32_e32 v87, v106, v51
	v_mul_f32_e32 v51, v70, v85
	v_fmac_f32_e32 v79, v70, v84
	v_fma_f32 v70, v71, v84, -v51
	v_mul_f32_e32 v51, v80, v109
	v_sub_f32_e32 v74, v107, v52
	v_mul_f32_e32 v52, v81, v109
	v_fma_f32 v51, v81, v108, -v51
	v_fmac_f32_e32 v52, v80, v108
	v_sub_f32_e32 v71, v70, v51
	s_waitcnt vmcnt(10)
	v_mul_f32_e32 v51, v68, v73
	v_sub_f32_e32 v114, v79, v52
	v_mul_f32_e32 v52, v69, v73
	v_fmac_f32_e32 v51, v69, v72
	v_or_b32_e32 v69, 64, v118
	v_mul_lo_u32 v69, v1, v69
	v_sub_f32_e32 v66, v74, v114
	v_add_f32_e32 v80, v87, v71
	v_fma_f32 v67, v68, v72, -v52
	v_mul_f32_e32 v52, v80, v51
	v_mul_f32_e32 v51, v66, v51
	v_fma_f32 v68, v70, 2.0, -v71
	v_lshlrev_b32_sdwa v71, v62, v69 dst_sel:DWORD dst_unused:UNUSED_PAD src0_sel:DWORD src1_sel:BYTE_0
	v_lshlrev_b32_sdwa v69, v62, v69 dst_sel:DWORD dst_unused:UNUSED_PAD src0_sel:DWORD src1_sel:BYTE_1
	v_fma_f32 v52, v66, v67, -v52
	v_fmac_f32_e32 v51, v80, v67
	v_fma_f32 v67, v107, 2.0, -v74
	global_load_dwordx2 v[85:86], v71, s[0:1]
	global_load_dwordx2 v[107:108], v69, s[0:1] offset:2048
	v_or_b32_e32 v69, 32, v77
	v_mul_lo_u32 v69, v1, v69
	v_fma_f32 v72, v79, 2.0, -v114
	v_fma_f32 v71, v106, 2.0, -v87
	s_waitcnt vmcnt(10)
	v_mul_f32_e32 v70, v83, v93
	v_lshlrev_b32_sdwa v73, v62, v69 dst_sel:DWORD dst_unused:UNUSED_PAD src0_sel:DWORD src1_sel:BYTE_0
	v_lshlrev_b32_sdwa v69, v62, v69 dst_sel:DWORD dst_unused:UNUSED_PAD src0_sel:DWORD src1_sel:BYTE_1
	global_load_dwordx2 v[114:115], v73, s[0:1]
	global_load_dwordx2 v[116:117], v69, s[0:1] offset:2048
	v_mul_f32_e32 v69, v82, v93
	v_sub_f32_e32 v72, v71, v72
	v_fmac_f32_e32 v69, v83, v92
	v_sub_f32_e32 v68, v67, v68
	v_fma_f32 v70, v82, v92, -v70
	v_mul_f32_e32 v73, v72, v69
	v_fma_f32 v93, v68, v70, -v73
	v_mul_f32_e32 v92, v68, v69
	v_fmac_f32_e32 v92, v72, v70
	v_fma_f32 v70, v87, 2.0, -v80
	v_fma_f32 v66, v74, 2.0, -v66
	;; [unrolled: 1-line block ×3, first 2 shown]
	s_waitcnt vmcnt(10)
	v_mul_f32_e32 v73, v94, v97
	v_mul_f32_e32 v69, v95, v97
	v_fmac_f32_e32 v73, v95, v96
	v_fma_f32 v69, v94, v96, -v69
	v_mul_f32_e32 v74, v70, v73
	v_fma_f32 v95, v66, v69, -v74
	v_mul_f32_e32 v94, v66, v73
	v_fmac_f32_e32 v94, v70, v69
	v_fma_f32 v70, v67, 2.0, -v68
	s_waitcnt vmcnt(8)
	v_mul_f32_e32 v66, v99, v101
	v_fma_f32 v73, v98, v100, -v66
	ds_read2st64_b64 v[66:69], v53 offset0:32 offset1:34
	v_mul_f32_e32 v72, v98, v101
	v_fmac_f32_e32 v72, v99, v100
	v_mul_f32_e32 v74, v71, v72
	v_fma_f32 v97, v70, v73, -v74
	v_mul_f32_e32 v96, v70, v72
	s_waitcnt vmcnt(6) lgkmcnt(0)
	v_mul_f32_e32 v74, v68, v91
	v_fmac_f32_e32 v96, v71, v73
	ds_read2st64_b64 v[70:73], v53 offset1:18
	v_fma_f32 v74, v69, v90, -v74
	v_mul_f32_e32 v69, v69, v91
	ds_read2st64_b64 v[79:82], v53 offset0:48 offset1:50
	ds_read_b64 v[98:99], v9
	v_fmac_f32_e32 v69, v68, v90
	v_mul_lo_u32 v68, v1, v118
	s_waitcnt vmcnt(4)
	v_mul_f32_e32 v83, v111, v113
	v_sub_f32_e32 v9, v105, v74
	s_waitcnt lgkmcnt(2)
	v_mul_f32_e32 v53, v73, v89
	s_waitcnt lgkmcnt(1)
	v_mul_f32_e32 v74, v82, v103
	v_fma_f32 v100, v110, v112, -v83
	v_sub_f32_e32 v91, v104, v69
	v_mul_f32_e32 v69, v72, v89
	v_lshlrev_b32_sdwa v83, v62, v68 dst_sel:DWORD dst_unused:UNUSED_PAD src0_sel:DWORD src1_sel:BYTE_0
	v_fmac_f32_e32 v53, v72, v88
	v_fmac_f32_e32 v74, v81, v102
	v_fma_f32 v101, v73, v88, -v69
	v_lshlrev_b32_sdwa v84, v62, v68 dst_sel:DWORD dst_unused:UNUSED_PAD src0_sel:DWORD src1_sel:BYTE_1
	global_load_dwordx2 v[68:69], v83, s[0:1]
	global_load_dwordx2 v[72:73], v84, s[0:1] offset:2048
	v_mul_f32_e32 v81, v81, v103
	v_fma_f32 v81, v82, v102, -v81
	v_sub_f32_e32 v102, v101, v81
	global_load_dwordx2 v[87:88], v59, s[16:17] offset:256
	global_load_dwordx4 v[81:84], v59, s[16:17] offset:240
	v_mul_lo_u32 v59, v1, v5
	v_sub_f32_e32 v74, v53, v74
	v_mul_f32_e32 v89, v110, v113
	v_fma_f32 v120, v104, 2.0, -v91
	v_sub_f32_e32 v77, v9, v74
	v_add_f32_e32 v109, v91, v102
	v_fmac_f32_e32 v89, v111, v112
	v_mul_f32_e32 v90, v109, v89
	v_mul_f32_e32 v89, v77, v89
	v_lshlrev_b32_sdwa v110, v62, v59 dst_sel:DWORD dst_unused:UNUSED_PAD src0_sel:DWORD src1_sel:BYTE_0
	v_lshlrev_b32_sdwa v59, v62, v59 dst_sel:DWORD dst_unused:UNUSED_PAD src0_sel:DWORD src1_sel:BYTE_1
	v_fma_f32 v53, v53, 2.0, -v74
	v_fma_f32 v90, v77, v100, -v90
	s_waitcnt vmcnt(6)
	v_mul_f32_e32 v104, v86, v108
	v_fma_f32 v121, v85, v107, -v104
	v_mul_lo_u32 v104, v1, v3
	v_mul_f32_e32 v74, v85, v108
	v_fmac_f32_e32 v89, v109, v100
	v_fma_f32 v106, v101, 2.0, -v102
	global_load_dwordx2 v[100:101], v110, s[0:1]
	global_load_dwordx2 v[102:103], v59, s[0:1] offset:2048
	v_fma_f32 v59, v105, 2.0, -v9
	v_sub_f32_e32 v53, v120, v53
	v_fmac_f32_e32 v74, v86, v107
	v_sub_f32_e32 v119, v59, v106
	v_mul_f32_e32 v85, v53, v74
	s_waitcnt vmcnt(6)
	v_mul_f32_e32 v86, v115, v117
	v_fma_f32 v9, v9, 2.0, -v77
	v_mul_lo_u32 v77, v1, v78
	v_fma_f32 v122, v114, v116, -v86
	v_mul_f32_e32 v108, v114, v117
	v_fma_f32 v86, v119, v121, -v85
	v_lshlrev_b32_sdwa v85, v62, v104 dst_sel:DWORD dst_unused:UNUSED_PAD src0_sel:DWORD src1_sel:BYTE_0
	v_fmac_f32_e32 v108, v115, v116
	v_lshlrev_b32_sdwa v110, v62, v104 dst_sel:DWORD dst_unused:UNUSED_PAD src0_sel:DWORD src1_sel:BYTE_1
	global_load_dwordx2 v[104:105], v85, s[0:1]
	global_load_dwordx2 v[106:107], v110, s[0:1] offset:2048
	v_mul_f32_e32 v85, v119, v74
	v_fma_f32 v74, v91, 2.0, -v109
	v_mul_f32_e32 v91, v74, v108
	v_mul_lo_u32 v1, v1, v76
	v_fma_f32 v109, v9, v122, -v91
	v_mul_f32_e32 v108, v9, v108
	v_lshlrev_b32_sdwa v9, v62, v77 dst_sel:DWORD dst_unused:UNUSED_PAD src0_sel:DWORD src1_sel:BYTE_0
	v_lshlrev_b32_sdwa v77, v62, v77 dst_sel:DWORD dst_unused:UNUSED_PAD src0_sel:DWORD src1_sel:BYTE_1
	global_load_dwordx2 v[110:111], v9, s[0:1]
	global_load_dwordx2 v[112:113], v77, s[0:1] offset:2048
	v_lshlrev_b32_sdwa v9, v62, v1 dst_sel:DWORD dst_unused:UNUSED_PAD src0_sel:DWORD src1_sel:BYTE_0
	v_lshlrev_b32_sdwa v1, v62, v1 dst_sel:DWORD dst_unused:UNUSED_PAD src0_sel:DWORD src1_sel:BYTE_1
	global_load_dwordx2 v[114:115], v9, s[0:1]
	global_load_dwordx2 v[116:117], v1, s[0:1] offset:2048
	v_fma_f32 v1, v59, 2.0, -v119
	v_fmac_f32_e32 v85, v53, v121
	v_fma_f32 v53, v120, 2.0, -v53
	v_fmac_f32_e32 v108, v74, v122
	s_waitcnt vmcnt(10)
	v_mul_f32_e32 v59, v68, v73
	v_mul_f32_e32 v9, v69, v73
	v_fmac_f32_e32 v59, v69, v72
	v_fma_f32 v9, v68, v72, -v9
	v_mul_f32_e32 v62, v53, v59
	v_fma_f32 v69, v1, v9, -v62
	v_mul_f32_e32 v68, v1, v59
	s_waitcnt vmcnt(8)
	v_mul_f32_e32 v1, v84, v66
	v_fma_f32 v1, v83, v67, -v1
	v_mul_f32_e32 v67, v84, v67
	v_fmac_f32_e32 v67, v83, v66
	s_waitcnt lgkmcnt(0)
	v_mul_f32_e32 v66, v82, v98
	v_fmac_f32_e32 v68, v53, v9
	v_mul_f32_e32 v9, v82, v99
	v_mul_f32_e32 v53, v80, v88
	v_fma_f32 v73, v81, v99, -v66
	v_mul_f32_e32 v66, v88, v79
	v_fmac_f32_e32 v9, v81, v98
	v_fmac_f32_e32 v53, v87, v79
	v_fma_f32 v66, v80, v87, -v66
	v_sub_f32_e32 v1, v71, v1
	v_sub_f32_e32 v53, v9, v53
	;; [unrolled: 1-line block ×4, first 2 shown]
	s_waitcnt vmcnt(6)
	v_mul_f32_e32 v66, v100, v103
	v_sub_f32_e32 v59, v1, v53
	v_mul_f32_e32 v62, v101, v103
	v_add_f32_e32 v77, v72, v74
	v_fmac_f32_e32 v66, v101, v102
	v_fma_f32 v62, v100, v102, -v62
	v_mul_f32_e32 v67, v77, v66
	v_mul_f32_e32 v66, v59, v66
	v_fma_f32 v67, v59, v62, -v67
	v_fmac_f32_e32 v66, v77, v62
	v_fma_f32 v62, v71, 2.0, -v1
	v_fma_f32 v71, v73, 2.0, -v74
	;; [unrolled: 1-line block ×4, first 2 shown]
	v_sub_f32_e32 v74, v62, v71
	s_waitcnt vmcnt(4)
	v_mul_f32_e32 v53, v104, v107
	v_mul_f32_e32 v71, v105, v107
	v_sub_f32_e32 v9, v79, v9
	v_fmac_f32_e32 v53, v105, v106
	v_fma_f32 v73, v104, v106, -v71
	v_mul_f32_e32 v70, v9, v53
	v_fma_f32 v1, v1, 2.0, -v59
	v_fma_f32 v59, v72, 2.0, -v77
	v_fma_f32 v71, v74, v73, -v70
	s_waitcnt vmcnt(2)
	v_mul_f32_e32 v72, v110, v113
	v_mul_f32_e32 v70, v74, v53
	;; [unrolled: 1-line block ×3, first 2 shown]
	v_fmac_f32_e32 v72, v111, v112
	v_fmac_f32_e32 v70, v9, v73
	v_fma_f32 v53, v110, v112, -v53
	v_mul_f32_e32 v73, v59, v72
	v_mul_f32_e32 v72, v1, v72
	v_fma_f32 v9, v79, 2.0, -v9
	v_mad_u64_u32 v[79:80], s[0:1], s8, v75, 0
	v_fma_f32 v73, v1, v53, -v73
	v_fmac_f32_e32 v72, v59, v53
	v_fma_f32 v53, v62, 2.0, -v74
	s_waitcnt vmcnt(0)
	v_mul_f32_e32 v62, v114, v117
	v_mul_f32_e32 v1, v115, v117
	v_fmac_f32_e32 v62, v115, v116
	v_fma_f32 v59, v114, v116, -v1
	v_mul_f32_e32 v1, v9, v62
	v_fma_f32 v77, v53, v59, -v1
	v_mov_b32_e32 v1, v80
	v_mad_u64_u32 v[74:75], s[0:1], s9, v75, v[1:2]
	v_mul_lo_u32 v1, s13, v76
	v_mad_u64_u32 v[81:82], s[0:1], s12, v76, 0
	v_mul_f32_e32 v76, v53, v62
	v_mov_b32_e32 v80, v74
	s_lshl_b64 s[0:1], s[2:3], 3
	v_fmac_f32_e32 v76, v9, v59
	v_add3_u32 v82, v82, v10, v1
	s_add_u32 s0, s14, s0
	v_lshlrev_b64 v[9:10], 3, v[79:80]
	s_addc_u32 s1, s15, s1
	v_mov_b32_e32 v53, s1
	v_add_co_u32_e32 v1, vcc, s0, v9
	v_addc_co_u32_e32 v9, vcc, v53, v10, vcc
	v_mul_lo_u32 v10, s13, v78
	v_mad_u64_u32 v[78:79], s[0:1], s12, v78, 0
	v_lshlrev_b64 v[74:75], 3, v[81:82]
	v_add3_u32 v79, v79, v8, v10
	v_mul_lo_u32 v8, s13, v3
	v_mul_lo_u32 v10, s12, v4
	v_mad_u64_u32 v[3:4], s[0:1], s12, v3, 0
	v_add_co_u32_e32 v74, vcc, v1, v74
	v_addc_co_u32_e32 v75, vcc, v9, v75, vcc
	global_store_dwordx2 v[74:75], v[76:77], off
	v_lshlrev_b64 v[74:75], 3, v[78:79]
	v_add3_u32 v4, v4, v10, v8
	v_mul_lo_u32 v8, s13, v5
	v_mul_lo_u32 v10, s12, v6
	v_mad_u64_u32 v[5:6], s[0:1], s12, v5, 0
	v_add_co_u32_e32 v74, vcc, v1, v74
	v_lshlrev_b64 v[3:4], 3, v[3:4]
	v_addc_co_u32_e32 v75, vcc, v9, v75, vcc
	v_add_co_u32_e32 v3, vcc, v1, v3
	s_movk_i32 s0, 0x80
	v_addc_co_u32_e32 v4, vcc, v9, v4, vcc
	v_add3_u32 v6, v6, v10, v8
	v_and_or_b32 v8, v57, s0, v118
	global_store_dwordx2 v[74:75], v[72:73], off
	global_store_dwordx2 v[3:4], v[70:71], off
	v_lshlrev_b64 v[3:4], 3, v[5:6]
	v_mad_u64_u32 v[5:6], s[2:3], s12, v8, 0
	v_or_b32_e32 v10, 32, v8
	v_add_co_u32_e32 v3, vcc, v1, v3
	v_mad_u64_u32 v[70:71], s[2:3], s13, v8, v[6:7]
	v_mad_u64_u32 v[71:72], s[2:3], s12, v10, 0
	v_addc_co_u32_e32 v4, vcc, v9, v4, vcc
	v_mov_b32_e32 v6, v70
	global_store_dwordx2 v[3:4], v[66:67], off
	v_lshlrev_b64 v[3:4], 3, v[5:6]
	v_mov_b32_e32 v5, v72
	v_mad_u64_u32 v[5:6], s[2:3], s13, v10, v[5:6]
	v_or_b32_e32 v10, 64, v8
	v_add_co_u32_e32 v3, vcc, v1, v3
	v_mov_b32_e32 v72, v5
	v_mad_u64_u32 v[5:6], s[2:3], s12, v10, 0
	v_addc_co_u32_e32 v4, vcc, v9, v4, vcc
	v_mad_u64_u32 v[66:67], s[2:3], s13, v10, v[6:7]
	v_or_b32_e32 v8, 0x60, v8
	global_store_dwordx2 v[3:4], v[68:69], off
	v_lshlrev_b64 v[3:4], 3, v[71:72]
	v_mad_u64_u32 v[67:68], s[2:3], s12, v8, 0
	v_add_co_u32_e32 v3, vcc, v1, v3
	v_addc_co_u32_e32 v4, vcc, v9, v4, vcc
	v_mov_b32_e32 v6, v66
	global_store_dwordx2 v[3:4], v[108:109], off
	v_lshlrev_b64 v[3:4], 3, v[5:6]
	v_mov_b32_e32 v5, v68
	v_mad_u64_u32 v[5:6], s[2:3], s13, v8, v[5:6]
	v_and_or_b32 v8, v58, s0, v65
	v_add_co_u32_e32 v3, vcc, v1, v3
	v_mov_b32_e32 v68, v5
	v_mad_u64_u32 v[5:6], s[2:3], s12, v8, 0
	v_addc_co_u32_e32 v4, vcc, v9, v4, vcc
	v_mad_u64_u32 v[57:58], s[2:3], s13, v8, v[6:7]
	v_or_b32_e32 v10, 32, v8
	global_store_dwordx2 v[3:4], v[85:86], off
	v_lshlrev_b64 v[3:4], 3, v[67:68]
	v_mad_u64_u32 v[58:59], s[2:3], s12, v10, 0
	v_add_co_u32_e32 v3, vcc, v1, v3
	v_addc_co_u32_e32 v4, vcc, v9, v4, vcc
	v_mov_b32_e32 v6, v57
	global_store_dwordx2 v[3:4], v[89:90], off
	v_lshlrev_b64 v[3:4], 3, v[5:6]
	v_mov_b32_e32 v5, v59
	v_mad_u64_u32 v[5:6], s[2:3], s13, v10, v[5:6]
	v_or_b32_e32 v10, 64, v8
	v_add_co_u32_e32 v3, vcc, v1, v3
	v_mov_b32_e32 v59, v5
	v_mad_u64_u32 v[5:6], s[2:3], s12, v10, 0
	v_addc_co_u32_e32 v4, vcc, v9, v4, vcc
	global_store_dwordx2 v[3:4], v[96:97], off
	v_lshlrev_b64 v[3:4], 3, v[58:59]
	v_mad_u64_u32 v[57:58], s[2:3], s13, v10, v[6:7]
	v_or_b32_e32 v8, 0x60, v8
	v_mad_u64_u32 v[58:59], s[2:3], s12, v8, 0
	v_add_co_u32_e32 v3, vcc, v1, v3
	v_addc_co_u32_e32 v4, vcc, v9, v4, vcc
	v_mov_b32_e32 v6, v57
	global_store_dwordx2 v[3:4], v[94:95], off
	v_lshlrev_b64 v[3:4], 3, v[5:6]
	v_mov_b32_e32 v5, v59
	v_mad_u64_u32 v[5:6], s[2:3], s13, v8, v[5:6]
	v_and_or_b32 v8, v56, s0, v64
	v_add_co_u32_e32 v3, vcc, v1, v3
	v_mov_b32_e32 v59, v5
	v_mad_u64_u32 v[5:6], s[2:3], s12, v8, 0
	v_addc_co_u32_e32 v4, vcc, v9, v4, vcc
	v_mad_u64_u32 v[56:57], s[2:3], s13, v8, v[6:7]
	v_or_b32_e32 v10, 32, v8
	global_store_dwordx2 v[3:4], v[92:93], off
	v_lshlrev_b64 v[3:4], 3, v[58:59]
	v_mad_u64_u32 v[57:58], s[2:3], s12, v10, 0
	v_add_co_u32_e32 v3, vcc, v1, v3
	v_addc_co_u32_e32 v4, vcc, v9, v4, vcc
	v_mov_b32_e32 v6, v56
	global_store_dwordx2 v[3:4], v[51:52], off
	v_lshlrev_b64 v[3:4], 3, v[5:6]
	v_mov_b32_e32 v5, v58
	v_mad_u64_u32 v[5:6], s[2:3], s13, v10, v[5:6]
	v_or_b32_e32 v10, 64, v8
	v_add_co_u32_e32 v3, vcc, v1, v3
	v_mov_b32_e32 v58, v5
	v_mad_u64_u32 v[5:6], s[2:3], s12, v10, 0
	v_addc_co_u32_e32 v4, vcc, v9, v4, vcc
	global_store_dwordx2 v[3:4], v[49:50], off
	v_mad_u64_u32 v[49:50], s[2:3], s13, v10, v[6:7]
	v_or_b32_e32 v8, 0x60, v8
	v_lshlrev_b64 v[3:4], 3, v[57:58]
	v_mad_u64_u32 v[50:51], s[2:3], s12, v8, 0
	v_add_co_u32_e32 v3, vcc, v1, v3
	v_addc_co_u32_e32 v4, vcc, v9, v4, vcc
	v_mov_b32_e32 v6, v49
	global_store_dwordx2 v[3:4], v[47:48], off
	v_lshlrev_b64 v[3:4], 3, v[5:6]
	v_mov_b32_e32 v5, v51
	v_mad_u64_u32 v[5:6], s[2:3], s13, v8, v[5:6]
	v_and_or_b32 v8, v55, s0, v63
	v_add_co_u32_e32 v3, vcc, v1, v3
	v_mov_b32_e32 v51, v5
	v_mad_u64_u32 v[5:6], s[2:3], s12, v8, 0
	v_addc_co_u32_e32 v4, vcc, v9, v4, vcc
	global_store_dwordx2 v[3:4], v[45:46], off
	v_mad_u64_u32 v[45:46], s[2:3], s13, v8, v[6:7]
	v_or_b32_e32 v10, 32, v8
	v_lshlrev_b64 v[3:4], 3, v[50:51]
	v_mad_u64_u32 v[46:47], s[2:3], s12, v10, 0
	v_add_co_u32_e32 v3, vcc, v1, v3
	v_addc_co_u32_e32 v4, vcc, v9, v4, vcc
	v_mov_b32_e32 v6, v45
	global_store_dwordx2 v[3:4], v[43:44], off
	v_lshlrev_b64 v[3:4], 3, v[5:6]
	v_mov_b32_e32 v5, v47
	v_mad_u64_u32 v[5:6], s[2:3], s13, v10, v[5:6]
	v_or_b32_e32 v10, 64, v8
	v_add_co_u32_e32 v3, vcc, v1, v3
	v_mov_b32_e32 v47, v5
	v_mad_u64_u32 v[5:6], s[2:3], s12, v10, 0
	v_addc_co_u32_e32 v4, vcc, v9, v4, vcc
	global_store_dwordx2 v[3:4], v[41:42], off
	v_mad_u64_u32 v[41:42], s[2:3], s13, v10, v[6:7]
	v_or_b32_e32 v8, 0x60, v8
	v_lshlrev_b64 v[3:4], 3, v[46:47]
	v_mad_u64_u32 v[42:43], s[2:3], s12, v8, 0
	v_add_co_u32_e32 v3, vcc, v1, v3
	v_addc_co_u32_e32 v4, vcc, v9, v4, vcc
	v_mov_b32_e32 v6, v41
	global_store_dwordx2 v[3:4], v[39:40], off
	v_lshlrev_b64 v[3:4], 3, v[5:6]
	v_mov_b32_e32 v5, v43
	v_mad_u64_u32 v[5:6], s[2:3], s13, v8, v[5:6]
	v_and_or_b32 v8, v54, s0, v61
	v_add_co_u32_e32 v3, vcc, v1, v3
	v_mov_b32_e32 v43, v5
	v_mad_u64_u32 v[5:6], s[2:3], s12, v8, 0
	v_addc_co_u32_e32 v4, vcc, v9, v4, vcc
	global_store_dwordx2 v[3:4], v[37:38], off
	v_mad_u64_u32 v[37:38], s[2:3], s13, v8, v[6:7]
	v_or_b32_e32 v10, 32, v8
	;; [unrolled: 34-line block ×3, first 2 shown]
	v_lshlrev_b64 v[3:4], 3, v[34:35]
	v_mad_u64_u32 v[7:8], s[2:3], s12, v29, 0
	v_add_co_u32_e32 v3, vcc, v1, v3
	v_addc_co_u32_e32 v4, vcc, v9, v4, vcc
	global_store_dwordx2 v[3:4], v[27:28], off
	v_lshlrev_b64 v[3:4], 3, v[5:6]
	v_mov_b32_e32 v5, v8
	v_mad_u64_u32 v[5:6], s[2:3], s13, v29, v[5:6]
	v_add_co_u32_e32 v3, vcc, v1, v3
	v_addc_co_u32_e32 v4, vcc, v9, v4, vcc
	v_mov_b32_e32 v8, v5
	global_store_dwordx2 v[3:4], v[25:26], off
	v_lshlrev_b64 v[3:4], 3, v[7:8]
	v_or_b32_e32 v7, 64, v10
	v_mad_u64_u32 v[5:6], s[2:3], s12, v7, 0
	v_or_b32_e32 v10, 0x60, v10
	v_add_co_u32_e32 v3, vcc, v1, v3
	v_mad_u64_u32 v[6:7], s[2:3], s13, v7, v[6:7]
	v_mad_u64_u32 v[7:8], s[2:3], s12, v10, 0
	v_addc_co_u32_e32 v4, vcc, v9, v4, vcc
	global_store_dwordx2 v[3:4], v[23:24], off
	v_lshlrev_b64 v[3:4], 3, v[5:6]
	v_mov_b32_e32 v5, v8
	v_mad_u64_u32 v[5:6], s[2:3], s13, v10, v[5:6]
	v_and_or_b32 v10, v0, s0, v2
	v_add_co_u32_e32 v3, vcc, v1, v3
	v_mov_b32_e32 v8, v5
	v_mad_u64_u32 v[5:6], s[0:1], s12, v10, 0
	v_addc_co_u32_e32 v4, vcc, v9, v4, vcc
	global_store_dwordx2 v[3:4], v[21:22], off
	v_lshlrev_b64 v[3:4], 3, v[7:8]
	v_mov_b32_e32 v0, v6
	v_add_co_u32_e32 v2, vcc, v1, v3
	v_addc_co_u32_e32 v3, vcc, v9, v4, vcc
	v_mad_u64_u32 v[6:7], s[0:1], s13, v10, v[0:1]
	v_or_b32_e32 v4, 32, v10
	v_mad_u64_u32 v[7:8], s[0:1], s12, v4, 0
	global_store_dwordx2 v[2:3], v[19:20], off
	v_lshlrev_b64 v[2:3], 3, v[5:6]
	v_mov_b32_e32 v0, v8
	v_mad_u64_u32 v[4:5], s[0:1], s13, v4, v[0:1]
	v_or_b32_e32 v6, 64, v10
	v_add_co_u32_e32 v2, vcc, v1, v2
	v_mov_b32_e32 v8, v4
	v_mad_u64_u32 v[4:5], s[0:1], s12, v6, 0
	v_addc_co_u32_e32 v3, vcc, v9, v3, vcc
	v_mov_b32_e32 v0, v5
	global_store_dwordx2 v[2:3], v[17:18], off
	v_lshlrev_b64 v[2:3], 3, v[7:8]
	v_mad_u64_u32 v[5:6], s[0:1], s13, v6, v[0:1]
	v_or_b32_e32 v8, 0x60, v10
	v_mad_u64_u32 v[6:7], s[0:1], s12, v8, 0
	v_add_co_u32_e32 v2, vcc, v1, v2
	v_addc_co_u32_e32 v3, vcc, v9, v3, vcc
	v_mov_b32_e32 v0, v7
	global_store_dwordx2 v[2:3], v[15:16], off
	v_lshlrev_b64 v[2:3], 3, v[4:5]
	v_mad_u64_u32 v[4:5], s[0:1], s13, v8, v[0:1]
	v_add_co_u32_e32 v2, vcc, v1, v2
	v_addc_co_u32_e32 v3, vcc, v9, v3, vcc
	v_mov_b32_e32 v7, v4
	global_store_dwordx2 v[2:3], v[13:14], off
	v_lshlrev_b64 v[2:3], 3, v[6:7]
	v_add_co_u32_e32 v0, vcc, v1, v2
	v_addc_co_u32_e32 v1, vcc, v9, v3, vcc
	global_store_dwordx2 v[0:1], v[11:12], off
.LBB0_12:
	s_endpgm
	.section	.rodata,"a",@progbits
	.p2align	6, 0x0
	.amdhsa_kernel fft_rtc_back_len128_factors_2_4_4_4_wgs_128_tpt_4_dim2_sp_ip_CI_sbcc_twdbase8_2step_dirReg
		.amdhsa_group_segment_fixed_size 0
		.amdhsa_private_segment_fixed_size 0
		.amdhsa_kernarg_size 88
		.amdhsa_user_sgpr_count 6
		.amdhsa_user_sgpr_private_segment_buffer 1
		.amdhsa_user_sgpr_dispatch_ptr 0
		.amdhsa_user_sgpr_queue_ptr 0
		.amdhsa_user_sgpr_kernarg_segment_ptr 1
		.amdhsa_user_sgpr_dispatch_id 0
		.amdhsa_user_sgpr_flat_scratch_init 0
		.amdhsa_user_sgpr_private_segment_size 0
		.amdhsa_uses_dynamic_stack 0
		.amdhsa_system_sgpr_private_segment_wavefront_offset 0
		.amdhsa_system_sgpr_workgroup_id_x 1
		.amdhsa_system_sgpr_workgroup_id_y 0
		.amdhsa_system_sgpr_workgroup_id_z 0
		.amdhsa_system_sgpr_workgroup_info 0
		.amdhsa_system_vgpr_workitem_id 0
		.amdhsa_next_free_vgpr 123
		.amdhsa_next_free_sgpr 24
		.amdhsa_reserve_vcc 1
		.amdhsa_reserve_flat_scratch 0
		.amdhsa_float_round_mode_32 0
		.amdhsa_float_round_mode_16_64 0
		.amdhsa_float_denorm_mode_32 3
		.amdhsa_float_denorm_mode_16_64 3
		.amdhsa_dx10_clamp 1
		.amdhsa_ieee_mode 1
		.amdhsa_fp16_overflow 0
		.amdhsa_exception_fp_ieee_invalid_op 0
		.amdhsa_exception_fp_denorm_src 0
		.amdhsa_exception_fp_ieee_div_zero 0
		.amdhsa_exception_fp_ieee_overflow 0
		.amdhsa_exception_fp_ieee_underflow 0
		.amdhsa_exception_fp_ieee_inexact 0
		.amdhsa_exception_int_div_zero 0
	.end_amdhsa_kernel
	.text
.Lfunc_end0:
	.size	fft_rtc_back_len128_factors_2_4_4_4_wgs_128_tpt_4_dim2_sp_ip_CI_sbcc_twdbase8_2step_dirReg, .Lfunc_end0-fft_rtc_back_len128_factors_2_4_4_4_wgs_128_tpt_4_dim2_sp_ip_CI_sbcc_twdbase8_2step_dirReg
                                        ; -- End function
	.section	.AMDGPU.csdata,"",@progbits
; Kernel info:
; codeLenInByte = 14832
; NumSgprs: 28
; NumVgprs: 123
; ScratchSize: 0
; MemoryBound: 0
; FloatMode: 240
; IeeeMode: 1
; LDSByteSize: 0 bytes/workgroup (compile time only)
; SGPRBlocks: 3
; VGPRBlocks: 30
; NumSGPRsForWavesPerEU: 28
; NumVGPRsForWavesPerEU: 123
; Occupancy: 2
; WaveLimiterHint : 1
; COMPUTE_PGM_RSRC2:SCRATCH_EN: 0
; COMPUTE_PGM_RSRC2:USER_SGPR: 6
; COMPUTE_PGM_RSRC2:TRAP_HANDLER: 0
; COMPUTE_PGM_RSRC2:TGID_X_EN: 1
; COMPUTE_PGM_RSRC2:TGID_Y_EN: 0
; COMPUTE_PGM_RSRC2:TGID_Z_EN: 0
; COMPUTE_PGM_RSRC2:TIDIG_COMP_CNT: 0
	.type	__hip_cuid_50009f065450e1f8,@object ; @__hip_cuid_50009f065450e1f8
	.section	.bss,"aw",@nobits
	.globl	__hip_cuid_50009f065450e1f8
__hip_cuid_50009f065450e1f8:
	.byte	0                               ; 0x0
	.size	__hip_cuid_50009f065450e1f8, 1

	.ident	"AMD clang version 19.0.0git (https://github.com/RadeonOpenCompute/llvm-project roc-6.4.0 25133 c7fe45cf4b819c5991fe208aaa96edf142730f1d)"
	.section	".note.GNU-stack","",@progbits
	.addrsig
	.addrsig_sym __hip_cuid_50009f065450e1f8
	.amdgpu_metadata
---
amdhsa.kernels:
  - .args:
      - .actual_access:  read_only
        .address_space:  global
        .offset:         0
        .size:           8
        .value_kind:     global_buffer
      - .address_space:  global
        .offset:         8
        .size:           8
        .value_kind:     global_buffer
      - .actual_access:  read_only
        .address_space:  global
        .offset:         16
        .size:           8
        .value_kind:     global_buffer
      - .actual_access:  read_only
        .address_space:  global
        .offset:         24
        .size:           8
        .value_kind:     global_buffer
      - .offset:         32
        .size:           8
        .value_kind:     by_value
      - .actual_access:  read_only
        .address_space:  global
        .offset:         40
        .size:           8
        .value_kind:     global_buffer
      - .actual_access:  read_only
        .address_space:  global
        .offset:         48
        .size:           8
        .value_kind:     global_buffer
      - .offset:         56
        .size:           4
        .value_kind:     by_value
      - .actual_access:  read_only
        .address_space:  global
        .offset:         64
        .size:           8
        .value_kind:     global_buffer
      - .actual_access:  read_only
        .address_space:  global
        .offset:         72
        .size:           8
        .value_kind:     global_buffer
      - .address_space:  global
        .offset:         80
        .size:           8
        .value_kind:     global_buffer
    .group_segment_fixed_size: 0
    .kernarg_segment_align: 8
    .kernarg_segment_size: 88
    .language:       OpenCL C
    .language_version:
      - 2
      - 0
    .max_flat_workgroup_size: 128
    .name:           fft_rtc_back_len128_factors_2_4_4_4_wgs_128_tpt_4_dim2_sp_ip_CI_sbcc_twdbase8_2step_dirReg
    .private_segment_fixed_size: 0
    .sgpr_count:     28
    .sgpr_spill_count: 0
    .symbol:         fft_rtc_back_len128_factors_2_4_4_4_wgs_128_tpt_4_dim2_sp_ip_CI_sbcc_twdbase8_2step_dirReg.kd
    .uniform_work_group_size: 1
    .uses_dynamic_stack: false
    .vgpr_count:     123
    .vgpr_spill_count: 0
    .wavefront_size: 64
amdhsa.target:   amdgcn-amd-amdhsa--gfx906
amdhsa.version:
  - 1
  - 2
...

	.end_amdgpu_metadata
